;; amdgpu-corpus repo=ROCm/rocFFT kind=compiled arch=gfx950 opt=O3
	.text
	.amdgcn_target "amdgcn-amd-amdhsa--gfx950"
	.amdhsa_code_object_version 6
	.protected	bluestein_single_fwd_len2028_dim1_sp_op_CI_CI ; -- Begin function bluestein_single_fwd_len2028_dim1_sp_op_CI_CI
	.globl	bluestein_single_fwd_len2028_dim1_sp_op_CI_CI
	.p2align	8
	.type	bluestein_single_fwd_len2028_dim1_sp_op_CI_CI,@function
bluestein_single_fwd_len2028_dim1_sp_op_CI_CI: ; @bluestein_single_fwd_len2028_dim1_sp_op_CI_CI
; %bb.0:
	s_load_dwordx4 s[12:15], s[0:1], 0x28
	v_mul_u32_u24_e32 v1, 0x1a5, v0
	v_mov_b32_e32 v89, 0
	v_add_u32_sdwa v98, s2, v1 dst_sel:DWORD dst_unused:UNUSED_PAD src0_sel:DWORD src1_sel:WORD_1
	v_mov_b32_e32 v99, v89
	s_waitcnt lgkmcnt(0)
	v_cmp_gt_u64_e32 vcc, s[12:13], v[98:99]
	s_and_saveexec_b64 s[2:3], vcc
	s_cbranch_execz .LBB0_20
; %bb.1:
	s_load_dwordx4 s[8:11], s[0:1], 0x18
	s_load_dwordx4 s[4:7], s[0:1], 0x0
	v_mov_b32_e32 v2, s14
	v_mov_b32_e32 v3, s15
	s_movk_i32 s2, 0x9c
	s_waitcnt lgkmcnt(0)
	s_load_dwordx4 s[12:15], s[8:9], 0x0
	v_mul_lo_u16_sdwa v1, v1, s2 dst_sel:DWORD dst_unused:UNUSED_PAD src0_sel:WORD_1 src1_sel:DWORD
	v_sub_u16_e32 v88, v0, v1
	v_mov_b32_e32 v28, 0x4e0
	v_lshlrev_b32_e32 v84, 3, v88
	s_waitcnt lgkmcnt(0)
	v_mad_u64_u32 v[0:1], s[2:3], s14, v98, 0
	v_mov_b32_e32 v4, v1
	v_mad_u64_u32 v[4:5], s[2:3], s15, v98, v[4:5]
	v_mov_b32_e32 v1, v4
	v_mad_u64_u32 v[4:5], s[2:3], s12, v88, 0
	v_mov_b32_e32 v6, v5
	v_mad_u64_u32 v[6:7], s[2:3], s13, v88, v[6:7]
	v_mov_b32_e32 v5, v6
	v_lshl_add_u64 v[0:1], v[0:1], 3, v[2:3]
	v_lshl_add_u64 v[0:1], v[4:5], 3, v[0:1]
	global_load_dwordx2 v[2:3], v[0:1], off
	v_mad_u64_u32 v[0:1], s[2:3], s12, v28, v[0:1]
	s_mul_i32 s8, s13, 0x4e0
	v_add_u32_e32 v1, s8, v1
	v_mad_u64_u32 v[6:7], s[2:3], s12, v28, v[0:1]
	v_add_u32_e32 v7, s8, v7
	v_mad_u64_u32 v[8:9], s[2:3], s12, v28, v[6:7]
	v_add_u32_e32 v9, s8, v9
	v_mov_b32_e32 v85, v89
	v_mad_u64_u32 v[10:11], s[2:3], s12, v28, v[8:9]
	v_lshl_add_u64 v[4:5], s[4:5], 0, v[84:85]
	v_add_u32_e32 v11, s8, v11
	s_movk_i32 s2, 0x1000
	global_load_dwordx2 v[114:115], v84, s[4:5]
	global_load_dwordx2 v[112:113], v84, s[4:5] offset:1248
	global_load_dwordx2 v[48:49], v84, s[4:5] offset:2496
	;; [unrolled: 1-line block ×3, first 2 shown]
	global_load_dwordx2 v[12:13], v[0:1], off
	global_load_dwordx2 v[14:15], v[6:7], off
	;; [unrolled: 1-line block ×4, first 2 shown]
	v_add_co_u32_e32 v0, vcc, s2, v4
	v_mad_u64_u32 v[6:7], s[2:3], s12, v28, v[10:11]
	v_add_u32_e32 v7, s8, v7
	v_addc_co_u32_e32 v1, vcc, 0, v5, vcc
	global_load_dwordx2 v[8:9], v[6:7], off
	global_load_dwordx2 v[110:111], v[0:1], off offset:896
	global_load_dwordx2 v[42:43], v[0:1], off offset:2144
	v_mad_u64_u32 v[6:7], s[2:3], s12, v28, v[6:7]
	v_add_u32_e32 v7, s8, v7
	global_load_dwordx2 v[10:11], v[6:7], off
	v_mad_u64_u32 v[6:7], s[2:3], s12, v28, v[6:7]
	s_movk_i32 s2, 0x2000
	v_add_u32_e32 v7, s8, v7
	v_add_co_u32_e32 v22, vcc, s2, v4
	global_load_dwordx2 v[20:21], v[6:7], off
	s_nop 0
	v_addc_co_u32_e32 v23, vcc, 0, v5, vcc
	global_load_dwordx2 v[46:47], v[0:1], off offset:3392
	global_load_dwordx2 v[38:39], v[22:23], off offset:544
	v_mad_u64_u32 v[0:1], s[2:3], s12, v28, v[6:7]
	v_add_u32_e32 v1, s8, v1
	global_load_dwordx2 v[6:7], v[0:1], off
	v_mad_u64_u32 v[0:1], s[2:3], s12, v28, v[0:1]
	v_add_u32_e32 v1, s8, v1
	global_load_dwordx2 v[24:25], v[0:1], off
	global_load_dwordx2 v[40:41], v[22:23], off offset:1792
	global_load_dwordx2 v[36:37], v[22:23], off offset:3040
	v_mad_u64_u32 v[0:1], s[2:3], s12, v28, v[0:1]
	v_add_u32_e32 v1, s8, v1
	s_movk_i32 s2, 0x3000
	global_load_dwordx2 v[22:23], v[0:1], off
	v_add_co_u32_e32 v4, vcc, s2, v4
	v_mad_u64_u32 v[0:1], s[2:3], s12, v28, v[0:1]
	s_nop 0
	v_addc_co_u32_e32 v5, vcc, 0, v5, vcc
	v_add_u32_e32 v1, s8, v1
	global_load_dwordx2 v[34:35], v[4:5], off offset:192
	global_load_dwordx2 v[26:27], v[0:1], off
	global_load_dwordx2 v[32:33], v[4:5], off offset:1440
	v_mad_u64_u32 v[0:1], s[2:3], s12, v28, v[0:1]
	v_add_u32_e32 v1, s8, v1
	global_load_dwordx2 v[28:29], v[0:1], off
	global_load_dwordx2 v[30:31], v[4:5], off offset:2688
	v_add_u32_e32 v85, 0x800, v84
	v_add_u32_e32 v4, 0x1200, v84
	s_load_dwordx4 s[8:11], s[10:11], 0x0
	s_mov_b32 s2, 0xbeedf032
	s_mov_b32 s18, 0x3f62ad3f
	;; [unrolled: 1-line block ×15, first 2 shown]
	v_cmp_gt_u16_e32 vcc, 39, v88
	s_waitcnt vmcnt(24)
	v_mul_f32_e32 v0, v2, v115
	v_fma_f32 v1, v3, v114, -v0
	v_mul_f32_e32 v0, v3, v115
	v_fmac_f32_e32 v0, v2, v114
	s_waitcnt vmcnt(20)
	v_mul_f32_e32 v2, v12, v113
	v_fma_f32 v3, v13, v112, -v2
	v_mul_f32_e32 v2, v13, v113
	v_fmac_f32_e32 v2, v12, v112
	ds_write2_b64 v84, v[0:1], v[2:3] offset1:156
	s_waitcnt vmcnt(19)
	v_mul_f32_e32 v0, v15, v49
	v_mul_f32_e32 v1, v14, v49
	s_waitcnt vmcnt(18)
	v_mul_f32_e32 v2, v17, v45
	v_mul_f32_e32 v3, v16, v45
	v_fmac_f32_e32 v0, v14, v48
	v_fma_f32 v1, v15, v48, -v1
	v_fmac_f32_e32 v2, v16, v44
	v_fma_f32 v3, v17, v44, -v3
	ds_write2_b64 v85, v[0:1], v[2:3] offset0:56 offset1:212
	s_waitcnt vmcnt(15)
	v_mul_f32_e32 v0, v19, v111
	v_mul_f32_e32 v1, v18, v111
	s_waitcnt vmcnt(14)
	v_mul_f32_e32 v2, v9, v43
	v_mul_f32_e32 v3, v8, v43
	v_fmac_f32_e32 v0, v18, v110
	v_fma_f32 v1, v19, v110, -v1
	v_fmac_f32_e32 v2, v8, v42
	v_fma_f32 v3, v9, v42, -v3
	ds_write2_b64 v4, v[0:1], v[2:3] offset0:48 offset1:204
	s_waitcnt vmcnt(11)
	v_mul_f32_e32 v0, v11, v47
	v_mul_f32_e32 v1, v10, v47
	s_waitcnt vmcnt(10)
	v_mul_f32_e32 v2, v21, v39
	v_mul_f32_e32 v3, v20, v39
	v_fmac_f32_e32 v0, v10, v46
	v_fma_f32 v1, v11, v46, -v1
	v_fmac_f32_e32 v2, v20, v38
	v_fma_f32 v3, v21, v38, -v3
	v_add_u32_e32 v14, 0x1c00, v84
	ds_write2_b64 v14, v[0:1], v[2:3] offset0:40 offset1:196
	s_waitcnt vmcnt(7)
	v_mul_f32_e32 v0, v7, v41
	v_mul_f32_e32 v1, v6, v41
	s_waitcnt vmcnt(6)
	v_mul_f32_e32 v2, v25, v37
	v_mul_f32_e32 v3, v24, v37
	v_fmac_f32_e32 v0, v6, v40
	v_fma_f32 v1, v7, v40, -v1
	v_fmac_f32_e32 v2, v24, v36
	v_fma_f32 v3, v25, v36, -v3
	v_add_u32_e32 v8, 0x2400, v84
	;; [unrolled: 12-line block ×3, first 2 shown]
	ds_write2_b64 v15, v[0:1], v[2:3] offset0:24 offset1:180
	s_waitcnt vmcnt(0)
	v_mul_f32_e32 v0, v29, v31
	v_mul_f32_e32 v1, v28, v31
	v_fmac_f32_e32 v0, v28, v30
	v_fma_f32 v1, v29, v30, -v1
	ds_write_b64 v84, v[0:1] offset:14976
	s_waitcnt lgkmcnt(0)
	s_barrier
	ds_read2_b64 v[4:7], v4 offset0:48 offset1:204
	ds_read2_b64 v[18:21], v8 offset0:96 offset1:252
	ds_read2_b64 v[0:3], v84 offset1:156
	ds_read2_b64 v[22:25], v85 offset0:56 offset1:212
	ds_read2_b64 v[26:29], v14 offset0:40 offset1:196
	v_accvgpr_write_b32 a6, v36
	s_waitcnt lgkmcnt(3)
	v_pk_add_f32 v[10:11], v[20:21], v[4:5]
	s_waitcnt lgkmcnt(2)
	v_pk_add_f32 v[8:9], v[0:1], v[2:3]
	v_pk_add_f32 v[12:13], v[4:5], v[20:21] neg_lo:[0,1] neg_hi:[0,1]
	s_waitcnt lgkmcnt(1)
	v_pk_add_f32 v[8:9], v[8:9], v[22:23]
	v_accvgpr_write_b32 a7, v37
	v_pk_add_f32 v[8:9], v[8:9], v[24:25]
	v_pk_add_f32 v[16:17], v[18:19], v[6:7]
	;; [unrolled: 1-line block ×3, first 2 shown]
	v_pk_add_f32 v[36:37], v[6:7], v[18:19] neg_lo:[0,1] neg_hi:[0,1]
	v_pk_add_f32 v[8:9], v[4:5], v[6:7]
	ds_read2_b64 v[4:7], v15 offset0:24 offset1:180
	ds_read_b64 v[14:15], v84 offset:14976
	s_waitcnt lgkmcnt(2)
	v_pk_add_f32 v[8:9], v[8:9], v[26:27]
	v_accvgpr_write_b32 a18, v48
	v_pk_add_f32 v[8:9], v[8:9], v[28:29]
	v_accvgpr_write_b32 a19, v49
	;; [unrolled: 2-line block ×3, first 2 shown]
	v_pk_add_f32 v[8:9], v[8:9], v[20:21]
	s_waitcnt lgkmcnt(1)
	v_pk_add_f32 v[56:57], v[4:5], v[24:25]
	v_pk_add_f32 v[58:59], v[24:25], v[4:5] neg_lo:[0,1] neg_hi:[0,1]
	v_pk_add_f32 v[4:5], v[8:9], v[4:5]
	s_waitcnt lgkmcnt(0)
	v_pk_add_f32 v[48:49], v[2:3], v[14:15] neg_lo:[0,1] neg_hi:[0,1]
	v_accvgpr_write_b32 a13, v43
	v_accvgpr_write_b32 a10, v40
	v_pk_add_f32 v[42:43], v[22:23], v[6:7] neg_lo:[0,1] neg_hi:[0,1]
	v_pk_add_f32 v[4:5], v[4:5], v[6:7]
	v_pk_add_f32 v[50:51], v[14:15], v[2:3]
	v_pk_mul_f32 v[2:3], v[48:49], s[2:3] op_sel:[1,0] op_sel_hi:[0,0]
	s_mov_b32 s2, 0xbf52af12
	v_accvgpr_write_b32 a11, v41
	v_pk_add_f32 v[40:41], v[6:7], v[22:23]
	v_pk_add_f32 v[24:25], v[4:5], v[14:15]
	v_pk_fma_f32 v[8:9], v[50:51], s[18:19], v[2:3] op_sel_hi:[1,0,1] neg_lo:[0,0,1] neg_hi:[0,0,1]
	v_pk_fma_f32 v[2:3], v[50:51], s[18:19], v[2:3] op_sel_hi:[1,0,1]
	v_pk_mul_f32 v[4:5], v[42:43], s[2:3] op_sel_hi:[1,0]
	v_mov_b32_e32 v7, v9
	v_pk_fma_f32 v[14:15], v[40:41], s[20:21], v[4:5] op_sel:[0,0,1] op_sel_hi:[1,0,0] neg_lo:[0,0,1] neg_hi:[0,0,1]
	v_pk_fma_f32 v[4:5], v[40:41], s[20:21], v[4:5] op_sel:[0,0,1] op_sel_hi:[1,0,0]
	v_mov_b32_e32 v9, v3
	v_pk_add_f32 v[8:9], v[0:1], v[8:9]
	v_mov_b32_e32 v3, v15
	v_mov_b32_e32 v15, v5
	v_pk_add_f32 v[18:19], v[14:15], v[8:9]
	v_pk_mul_f32 v[8:9], v[58:59], s[12:13] op_sel_hi:[1,0]
	v_pk_add_f32 v[64:65], v[28:29], v[26:27]
	v_pk_fma_f32 v[20:21], v[56:57], s[24:25], v[8:9] op_sel:[0,0,1] op_sel_hi:[1,0,0] neg_lo:[0,0,1] neg_hi:[0,0,1]
	v_pk_fma_f32 v[14:15], v[56:57], s[24:25], v[8:9] op_sel:[0,0,1] op_sel_hi:[1,0,0]
	v_mov_b32_e32 v9, v21
	v_mov_b32_e32 v21, v15
	v_pk_add_f32 v[20:21], v[20:21], v[18:19]
	v_pk_mul_f32 v[18:19], v[12:13], s[14:15] op_sel_hi:[1,0]
	v_pk_add_f32 v[66:67], v[26:27], v[28:29] neg_lo:[0,1] neg_hi:[0,1]
	v_pk_fma_f32 v[22:23], v[10:11], s[28:29], v[18:19] op_sel:[0,0,1] op_sel_hi:[1,0,0] neg_lo:[0,0,1] neg_hi:[0,0,1]
	v_pk_fma_f32 v[18:19], v[10:11], s[28:29], v[18:19] op_sel:[0,0,1] op_sel_hi:[1,0,0]
	v_mov_b32_e32 v15, v23
	v_mov_b32_e32 v23, v19
	v_pk_add_f32 v[22:23], v[22:23], v[20:21]
	v_pk_mul_f32 v[20:21], v[36:37], s[16:17] op_sel_hi:[1,0]
	v_mul_lo_u16_e32 v5, 13, v88
	v_pk_fma_f32 v[26:27], v[16:17], s[30:31], v[20:21] op_sel:[0,0,1] op_sel_hi:[1,0,0] neg_lo:[0,0,1] neg_hi:[0,0,1]
	v_pk_fma_f32 v[20:21], v[16:17], s[30:31], v[20:21] op_sel:[0,0,1] op_sel_hi:[1,0,0]
	v_mov_b32_e32 v19, v27
	v_mov_b32_e32 v27, v21
	v_pk_add_f32 v[26:27], v[26:27], v[22:23]
	v_pk_mul_f32 v[22:23], v[66:67], s[22:23] op_sel_hi:[1,0]
	v_lshlrev_b32_e32 v99, 3, v5
	v_pk_fma_f32 v[28:29], v[64:65], s[26:27], v[22:23] op_sel:[0,0,1] op_sel_hi:[1,0,0] neg_lo:[0,0,1] neg_hi:[0,0,1]
	v_pk_fma_f32 v[22:23], v[64:65], s[26:27], v[22:23] op_sel:[0,0,1] op_sel_hi:[1,0,0]
	v_mov_b32_e32 v21, v29
	v_mov_b32_e32 v29, v23
	v_pk_add_f32 v[26:27], v[28:29], v[26:27]
	s_barrier
	ds_write2_b64 v99, v[24:25], v[26:27] offset1:1
	v_mov_b32_e32 v25, v51
	v_mov_b32_e32 v51, v48
	s_mov_b32 s21, s2
	v_accvgpr_write_b32 a0, v30
	v_mov_b32_e32 v24, v49
	s_mov_b32 s3, s20
	v_pk_mul_f32 v[28:29], v[50:51], s[20:21]
	v_accvgpr_write_b32 a2, v32
	v_accvgpr_write_b32 a1, v31
	v_pk_fma_f32 v[30:31], v[48:49], s[2:3], v[28:29] op_sel:[1,0,0] op_sel_hi:[0,1,1] neg_lo:[1,0,0] neg_hi:[1,0,0]
	v_pk_fma_f32 v[26:27], v[24:25], s[2:3], v[28:29]
	v_accvgpr_write_b32 a4, v34
	v_accvgpr_write_b32 a3, v33
	v_mov_b32_e32 v31, v27
	v_pk_mul_f32 v[32:33], v[42:43], s[14:15] op_sel_hi:[1,0]
	v_accvgpr_write_b32 a8, v38
	v_accvgpr_write_b32 a5, v35
	v_pk_add_f32 v[34:35], v[0:1], v[30:31]
	v_pk_fma_f32 v[30:31], v[40:41], s[28:29], v[32:33] op_sel:[0,0,1] op_sel_hi:[1,0,0] neg_lo:[0,0,1] neg_hi:[0,0,1]
	v_pk_fma_f32 v[32:33], v[40:41], s[28:29], v[32:33] op_sel:[0,0,1] op_sel_hi:[1,0,0]
	v_accvgpr_write_b32 a9, v39
	v_mov_b32_e32 v38, v30
	v_mov_b32_e32 v39, v33
	v_accvgpr_write_b32 a16, v46
	v_pk_add_f32 v[38:39], v[38:39], v[34:35]
	v_pk_mul_f32 v[34:35], v[58:59], s[22:23] op_sel_hi:[1,0]
	v_accvgpr_write_b32 a14, v44
	v_accvgpr_write_b32 a17, v47
	v_pk_fma_f32 v[46:47], v[56:57], s[26:27], v[34:35] op_sel:[0,0,1] op_sel_hi:[1,0,0] neg_lo:[0,0,1] neg_hi:[0,0,1]
	v_pk_fma_f32 v[34:35], v[56:57], s[26:27], v[34:35] op_sel:[0,0,1] op_sel_hi:[1,0,0]
	v_accvgpr_write_b32 a15, v45
	v_mov_b32_e32 v44, v46
	v_mov_b32_e32 v45, v35
	v_pk_add_f32 v[44:45], v[44:45], v[38:39]
	v_pk_mul_f32 v[38:39], v[12:13], s[38:39] op_sel_hi:[1,0]
	s_mov_b32 s13, s24
	v_pk_fma_f32 v[54:55], v[10:11], s[30:31], v[38:39] op_sel:[0,0,1] op_sel_hi:[1,0,0] neg_lo:[0,0,1] neg_hi:[0,0,1]
	v_pk_fma_f32 v[38:39], v[10:11], s[30:31], v[38:39] op_sel:[0,0,1] op_sel_hi:[1,0,0]
	v_mov_b32_e32 v52, v54
	v_mov_b32_e32 v53, v39
	v_pk_add_f32 v[52:53], v[52:53], v[44:45]
	v_pk_mul_f32 v[44:45], v[36:37], s[36:37] op_sel_hi:[1,0]
	s_mov_b32 s15, s28
	v_pk_fma_f32 v[60:61], v[16:17], s[24:25], v[44:45] op_sel:[0,0,1] op_sel_hi:[1,0,0] neg_lo:[0,0,1] neg_hi:[0,0,1]
	v_pk_fma_f32 v[44:45], v[16:17], s[24:25], v[44:45] op_sel:[0,0,1] op_sel_hi:[1,0,0]
	;; [unrolled: 7-line block ×3, first 2 shown]
	v_mov_b32_e32 v70, v62
	v_mov_b32_e32 v71, v53
	v_pk_add_f32 v[124:125], v[70:71], v[68:69]
	v_pk_mul_f32 v[70:71], v[50:51], s[24:25]
	v_pk_mul_f32 v[130:131], v[42:43], s[38:39] op_sel_hi:[1,0]
	v_pk_fma_f32 v[72:73], v[48:49], s[12:13], v[70:71] op_sel:[1,0,0] op_sel_hi:[0,1,1] neg_lo:[1,0,0] neg_hi:[1,0,0]
	v_pk_fma_f32 v[68:69], v[24:25], s[12:13], v[70:71]
	v_pk_fma_f32 v[132:133], v[40:41], s[30:31], v[130:131] op_sel:[0,0,1] op_sel_hi:[1,0,0] neg_lo:[0,0,1] neg_hi:[0,0,1]
	v_mov_b32_e32 v73, v69
	v_pk_add_f32 v[76:77], v[0:1], v[72:73]
	v_pk_mul_f32 v[72:73], v[42:43], s[22:23] op_sel_hi:[1,0]
	v_pk_fma_f32 v[130:131], v[40:41], s[30:31], v[130:131] op_sel:[0,0,1] op_sel_hi:[1,0,0]
	v_pk_fma_f32 v[74:75], v[40:41], s[26:27], v[72:73] op_sel:[0,0,1] op_sel_hi:[1,0,0] neg_lo:[0,0,1] neg_hi:[0,0,1]
	v_pk_fma_f32 v[72:73], v[40:41], s[26:27], v[72:73] op_sel:[0,0,1] op_sel_hi:[1,0,0]
	v_mov_b32_e32 v78, v74
	v_mov_b32_e32 v79, v73
	v_pk_add_f32 v[78:79], v[78:79], v[76:77]
	v_pk_mul_f32 v[76:77], v[58:59], s[40:41] op_sel_hi:[1,0]
	v_mov_b32_e32 v134, v132
	v_pk_fma_f32 v[82:83], v[56:57], s[28:29], v[76:77] op_sel:[0,0,1] op_sel_hi:[1,0,0] neg_lo:[0,0,1] neg_hi:[0,0,1]
	v_pk_fma_f32 v[76:77], v[56:57], s[28:29], v[76:77] op_sel:[0,0,1] op_sel_hi:[1,0,0]
	v_mov_b32_e32 v80, v82
	v_mov_b32_e32 v81, v77
	v_pk_add_f32 v[80:81], v[80:81], v[78:79]
	v_pk_mul_f32 v[78:79], v[12:13], s[34:35] op_sel_hi:[1,0]
	s_mov_b32 s29, s14
	v_pk_fma_f32 v[118:119], v[10:11], s[18:19], v[78:79] op_sel:[0,0,1] op_sel_hi:[1,0,0] neg_lo:[0,0,1] neg_hi:[0,0,1]
	v_pk_fma_f32 v[78:79], v[10:11], s[18:19], v[78:79] op_sel:[0,0,1] op_sel_hi:[1,0,0]
	v_mov_b32_e32 v116, v118
	v_mov_b32_e32 v117, v79
	v_pk_add_f32 v[116:117], v[116:117], v[80:81]
	v_pk_mul_f32 v[80:81], v[36:37], s[2:3] op_sel_hi:[1,0]
	v_mov_b32_e32 v135, v131
	v_pk_fma_f32 v[120:121], v[16:17], s[20:21], v[80:81] op_sel:[0,0,1] op_sel_hi:[1,0,0] neg_lo:[0,0,1] neg_hi:[0,0,1]
	v_pk_fma_f32 v[80:81], v[16:17], s[20:21], v[80:81] op_sel:[0,0,1] op_sel_hi:[1,0,0]
	v_mov_b32_e32 v122, v120
	v_mov_b32_e32 v123, v81
	v_pk_add_f32 v[126:127], v[122:123], v[116:117]
	v_pk_mul_f32 v[116:117], v[66:67], s[16:17] op_sel_hi:[1,0]
	s_mov_b32 s38, 0x3e750f2a
	v_pk_fma_f32 v[122:123], v[64:65], s[30:31], v[116:117] op_sel:[0,0,1] op_sel_hi:[1,0,0] neg_lo:[0,0,1] neg_hi:[0,0,1]
	v_pk_fma_f32 v[116:117], v[64:65], s[30:31], v[116:117] op_sel:[0,0,1] op_sel_hi:[1,0,0]
	v_mov_b32_e32 v128, v122
	v_mov_b32_e32 v129, v117
	v_pk_add_f32 v[126:127], v[128:129], v[126:127]
	ds_write2_b64 v99, v[124:125], v[126:127] offset0:2 offset1:3
	v_pk_mul_f32 v[124:125], v[50:51], s[28:29]
	s_mov_b32 s40, 0x3f52af12
	v_pk_fma_f32 v[126:127], v[48:49], s[14:15], v[124:125] op_sel:[1,0,0] op_sel_hi:[0,1,1] neg_lo:[1,0,0] neg_hi:[1,0,0]
	v_pk_fma_f32 v[128:129], v[24:25], s[14:15], v[124:125]
	s_mov_b32 s31, s16
	v_mov_b32_e32 v127, v129
	v_pk_add_f32 v[126:127], v[0:1], v[126:127]
	s_mov_b32 s17, s30
	v_pk_add_f32 v[126:127], v[134:135], v[126:127]
	v_pk_mul_f32 v[134:135], v[58:59], s[34:35] op_sel_hi:[1,0]
	v_pk_mul_f32 v[156:157], v[42:43], s[36:37] op_sel_hi:[1,0]
	v_pk_fma_f32 v[136:137], v[56:57], s[18:19], v[134:135] op_sel:[0,0,1] op_sel_hi:[1,0,0] neg_lo:[0,0,1] neg_hi:[0,0,1]
	v_pk_fma_f32 v[134:135], v[56:57], s[18:19], v[134:135] op_sel:[0,0,1] op_sel_hi:[1,0,0]
	v_mov_b32_e32 v138, v136
	v_mov_b32_e32 v139, v135
	v_pk_add_f32 v[126:127], v[138:139], v[126:127]
	v_pk_mul_f32 v[138:139], v[12:13], s[12:13] op_sel_hi:[1,0]
	v_pk_fma_f32 v[158:159], v[40:41], s[24:25], v[156:157] op_sel:[0,0,1] op_sel_hi:[1,0,0] neg_lo:[0,0,1] neg_hi:[0,0,1]
	v_pk_fma_f32 v[140:141], v[10:11], s[24:25], v[138:139] op_sel:[0,0,1] op_sel_hi:[1,0,0] neg_lo:[0,0,1] neg_hi:[0,0,1]
	v_pk_fma_f32 v[138:139], v[10:11], s[24:25], v[138:139] op_sel:[0,0,1] op_sel_hi:[1,0,0]
	v_mov_b32_e32 v142, v140
	v_mov_b32_e32 v143, v139
	v_pk_add_f32 v[126:127], v[142:143], v[126:127]
	v_pk_mul_f32 v[142:143], v[36:37], s[38:39] op_sel_hi:[1,0]
	v_pk_fma_f32 v[156:157], v[40:41], s[24:25], v[156:157] op_sel:[0,0,1] op_sel_hi:[1,0,0]
	v_pk_fma_f32 v[144:145], v[16:17], s[26:27], v[142:143] op_sel:[0,0,1] op_sel_hi:[1,0,0] neg_lo:[0,0,1] neg_hi:[0,0,1]
	v_pk_fma_f32 v[142:143], v[16:17], s[26:27], v[142:143] op_sel:[0,0,1] op_sel_hi:[1,0,0]
	v_mov_b32_e32 v146, v144
	v_mov_b32_e32 v147, v143
	v_pk_add_f32 v[126:127], v[146:147], v[126:127]
	v_pk_mul_f32 v[146:147], v[66:67], s[40:41] op_sel_hi:[1,0]
	v_mov_b32_e32 v160, v158
	v_pk_fma_f32 v[148:149], v[64:65], s[20:21], v[146:147] op_sel:[0,0,1] op_sel_hi:[1,0,0] neg_lo:[0,0,1] neg_hi:[0,0,1]
	v_pk_fma_f32 v[146:147], v[64:65], s[20:21], v[146:147] op_sel:[0,0,1] op_sel_hi:[1,0,0]
	v_mov_b32_e32 v150, v148
	v_mov_b32_e32 v151, v147
	v_pk_add_f32 v[126:127], v[150:151], v[126:127]
	v_pk_mul_f32 v[150:151], v[50:51], s[30:31]
	v_mov_b32_e32 v161, v157
	v_pk_fma_f32 v[152:153], v[48:49], s[16:17], v[150:151] op_sel:[1,0,0] op_sel_hi:[0,1,1] neg_lo:[1,0,0] neg_hi:[1,0,0]
	v_pk_fma_f32 v[154:155], v[24:25], s[16:17], v[150:151]
	v_pk_mul_f32 v[42:43], v[42:43], s[34:35] op_sel_hi:[1,0]
	v_mov_b32_e32 v153, v155
	v_pk_add_f32 v[152:153], v[0:1], v[152:153]
	s_mov_b32 s23, s26
	v_pk_add_f32 v[152:153], v[160:161], v[152:153]
	v_pk_mul_f32 v[160:161], v[58:59], s[2:3] op_sel_hi:[1,0]
	v_pk_mul_f32 v[58:59], v[58:59], s[16:17] op_sel_hi:[1,0]
	v_pk_fma_f32 v[162:163], v[56:57], s[20:21], v[160:161] op_sel:[0,0,1] op_sel_hi:[1,0,0] neg_lo:[0,0,1] neg_hi:[0,0,1]
	v_pk_fma_f32 v[160:161], v[56:57], s[20:21], v[160:161] op_sel:[0,0,1] op_sel_hi:[1,0,0]
	v_mov_b32_e32 v164, v162
	v_mov_b32_e32 v165, v161
	v_pk_add_f32 v[152:153], v[164:165], v[152:153]
	v_pk_mul_f32 v[164:165], v[12:13], s[38:39] op_sel_hi:[1,0]
	v_pk_mul_f32 v[12:13], v[12:13], s[40:41] op_sel_hi:[1,0]
	v_pk_fma_f32 v[166:167], v[10:11], s[26:27], v[164:165] op_sel:[0,0,1] op_sel_hi:[1,0,0] neg_lo:[0,0,1] neg_hi:[0,0,1]
	v_pk_fma_f32 v[164:165], v[10:11], s[26:27], v[164:165] op_sel:[0,0,1] op_sel_hi:[1,0,0]
	v_mov_b32_e32 v168, v166
	v_mov_b32_e32 v169, v165
	v_pk_add_f32 v[152:153], v[168:169], v[152:153]
	v_pk_mul_f32 v[168:169], v[36:37], s[34:35] op_sel_hi:[1,0]
	s_mov_b32 s27, s22
	v_pk_fma_f32 v[170:171], v[16:17], s[18:19], v[168:169] op_sel:[0,0,1] op_sel_hi:[1,0,0] neg_lo:[0,0,1] neg_hi:[0,0,1]
	v_pk_fma_f32 v[168:169], v[16:17], s[18:19], v[168:169] op_sel:[0,0,1] op_sel_hi:[1,0,0]
	v_mov_b32_e32 v172, v170
	v_mov_b32_e32 v173, v169
	v_pk_add_f32 v[152:153], v[172:173], v[152:153]
	v_pk_mul_f32 v[172:173], v[66:67], s[14:15] op_sel_hi:[1,0]
	v_mov_b32_e32 v6, v2
	v_pk_fma_f32 v[174:175], v[64:65], s[28:29], v[172:173] op_sel:[0,0,1] op_sel_hi:[1,0,0] neg_lo:[0,0,1] neg_hi:[0,0,1]
	v_pk_fma_f32 v[172:173], v[64:65], s[28:29], v[172:173] op_sel:[0,0,1] op_sel_hi:[1,0,0]
	v_mov_b32_e32 v176, v174
	v_mov_b32_e32 v177, v173
	v_pk_add_f32 v[152:153], v[176:177], v[152:153]
	ds_write2_b64 v99, v[126:127], v[152:153] offset0:4 offset1:5
	v_pk_fma_f32 v[126:127], v[56:57], s[30:31], v[58:59] op_sel:[0,0,1] op_sel_hi:[1,0,0] neg_lo:[0,0,1] neg_hi:[0,0,1]
	v_pk_fma_f32 v[56:57], v[56:57], s[30:31], v[58:59] op_sel:[0,0,1] op_sel_hi:[1,0,0]
	v_pk_fma_f32 v[58:59], v[10:11], s[20:21], v[12:13] op_sel:[0,0,1] op_sel_hi:[1,0,0] neg_lo:[0,0,1] neg_hi:[0,0,1]
	v_pk_fma_f32 v[10:11], v[10:11], s[20:21], v[12:13] op_sel:[0,0,1] op_sel_hi:[1,0,0]
	v_pk_mul_f32 v[12:13], v[36:37], s[14:15] op_sel_hi:[1,0]
	v_mov_b32_e32 v2, v4
	v_pk_fma_f32 v[36:37], v[16:17], s[28:29], v[12:13] op_sel:[0,0,1] op_sel_hi:[1,0,0] neg_lo:[0,0,1] neg_hi:[0,0,1]
	v_pk_fma_f32 v[12:13], v[16:17], s[28:29], v[12:13] op_sel:[0,0,1] op_sel_hi:[1,0,0]
	v_pk_mul_f32 v[16:17], v[66:67], s[36:37] op_sel_hi:[1,0]
	v_pk_add_f32 v[4:5], v[0:1], v[6:7]
	v_pk_fma_f32 v[66:67], v[64:65], s[24:25], v[16:17] op_sel:[0,0,1] op_sel_hi:[1,0,0] neg_lo:[0,0,1] neg_hi:[0,0,1]
	v_pk_fma_f32 v[16:17], v[64:65], s[24:25], v[16:17] op_sel:[0,0,1] op_sel_hi:[1,0,0]
	v_pk_fma_f32 v[64:65], v[40:41], s[18:19], v[42:43] op_sel:[0,0,1] op_sel_hi:[1,0,0] neg_lo:[0,0,1] neg_hi:[0,0,1]
	v_pk_fma_f32 v[40:41], v[40:41], s[18:19], v[42:43] op_sel:[0,0,1] op_sel_hi:[1,0,0]
	v_pk_mul_f32 v[42:43], v[50:51], s[26:27]
	v_mov_b32_e32 v152, v64
	v_pk_fma_f32 v[48:49], v[48:49], s[22:23], v[42:43] op_sel:[1,0,0] op_sel_hi:[0,1,1] neg_lo:[1,0,0] neg_hi:[1,0,0]
	v_pk_fma_f32 v[50:51], v[24:25], s[22:23], v[42:43]
	v_mov_b32_e32 v153, v41
	v_mov_b32_e32 v49, v51
	v_pk_add_f32 v[48:49], v[0:1], v[48:49]
	v_mov_b32_e32 v41, v65
	v_pk_add_f32 v[48:49], v[152:153], v[48:49]
	v_mov_b32_e32 v152, v126
	v_mov_b32_e32 v153, v57
	v_pk_add_f32 v[48:49], v[152:153], v[48:49]
	v_mov_b32_e32 v152, v58
	;; [unrolled: 3-line block ×3, first 2 shown]
	v_mov_b32_e32 v153, v13
	v_mov_b32_e32 v13, v37
	v_pk_fma_f32 v[36:37], v[24:25], s[22:23], v[42:43] neg_lo:[0,0,1] neg_hi:[0,0,1]
	v_mov_b32_e32 v57, v127
	v_mov_b32_e32 v51, v37
	v_pk_add_f32 v[36:37], v[0:1], v[50:51]
	v_mov_b32_e32 v11, v59
	v_pk_add_f32 v[36:37], v[40:41], v[36:37]
	;; [unrolled: 2-line block ×3, first 2 shown]
	v_pk_add_f32 v[2:3], v[2:3], v[4:5]
	v_pk_add_f32 v[10:11], v[10:11], v[36:37]
	v_mov_b32_e32 v14, v18
	v_pk_add_f32 v[2:3], v[8:9], v[2:3]
	v_pk_add_f32 v[48:49], v[152:153], v[48:49]
	v_mov_b32_e32 v152, v66
	v_mov_b32_e32 v153, v17
	;; [unrolled: 1-line block ×3, first 2 shown]
	v_pk_add_f32 v[10:11], v[12:13], v[10:11]
	v_mov_b32_e32 v18, v20
	v_pk_add_f32 v[2:3], v[14:15], v[2:3]
	v_pk_add_f32 v[48:49], v[152:153], v[48:49]
	;; [unrolled: 1-line block ×3, first 2 shown]
	v_mov_b32_e32 v20, v22
	v_pk_add_f32 v[2:3], v[18:19], v[2:3]
	ds_write2_b64 v99, v[48:49], v[10:11] offset0:6 offset1:7
	v_pk_fma_f32 v[10:11], v[24:25], s[16:17], v[150:151] neg_lo:[0,0,1] neg_hi:[0,0,1]
	v_pk_fma_f32 v[12:13], v[24:25], s[14:15], v[124:125] neg_lo:[0,0,1] neg_hi:[0,0,1]
	v_pk_add_f32 v[48:49], v[20:21], v[2:3]
	v_pk_fma_f32 v[2:3], v[24:25], s[12:13], v[70:71] neg_lo:[0,0,1] neg_hi:[0,0,1]
	v_pk_fma_f32 v[4:5], v[24:25], s[2:3], v[28:29] neg_lo:[0,0,1] neg_hi:[0,0,1]
	v_mov_b32_e32 v155, v11
	v_mov_b32_e32 v129, v13
	;; [unrolled: 1-line block ×5, first 2 shown]
	v_pk_add_f32 v[10:11], v[0:1], v[154:155]
	v_mov_b32_e32 v131, v133
	v_pk_add_f32 v[12:13], v[0:1], v[128:129]
	v_mov_b32_e32 v73, v75
	v_pk_add_f32 v[2:3], v[0:1], v[68:69]
	v_pk_add_f32 v[0:1], v[0:1], v[26:27]
	v_mov_b32_e32 v33, v31
	v_mov_b32_e32 v161, v163
	v_pk_add_f32 v[10:11], v[156:157], v[10:11]
	v_mov_b32_e32 v135, v137
	v_pk_add_f32 v[12:13], v[130:131], v[12:13]
	;; [unrolled: 2-line block ×16, first 2 shown]
	v_pk_add_f32 v[10:11], v[172:173], v[10:11]
	v_pk_add_f32 v[12:13], v[146:147], v[12:13]
	;; [unrolled: 1-line block ×4, first 2 shown]
	v_add_u32_e32 v4, 0x1e00, v84
	ds_write2_b64 v99, v[10:11], v[12:13] offset0:8 offset1:9
	ds_write2_b64 v99, v[2:3], v[0:1] offset0:10 offset1:11
	ds_write_b64 v99, v[48:49] offset:96
	s_waitcnt lgkmcnt(0)
	s_barrier
	ds_read2_b64 v[36:39], v4 offset0:54 offset1:210
	v_add_u32_e32 v4, 0x2800, v84
	ds_read2_b64 v[24:27], v4 offset0:46 offset1:241
	v_add_u32_e32 v4, 0x1400, v84
	;; [unrolled: 2-line block ×3, first 2 shown]
	s_load_dwordx2 s[12:13], s[0:1], 0x38
	ds_read2_b64 v[0:3], v85 offset0:56 offset1:251
	ds_read2_b64 v[28:31], v4 offset0:13 offset1:169
	ds_read2_b64 v[32:35], v84 offset1:156
	v_cmp_lt_u16_e64 s[2:3], 38, v88
                                        ; implicit-def: $vgpr44
                                        ; implicit-def: $vgpr46
                                        ; implicit-def: $vgpr52
                                        ; implicit-def: $vgpr50
	s_and_saveexec_b64 s[0:1], vcc
	s_cbranch_execz .LBB0_3
; %bb.2:
	ds_read_b64 v[48:49], v84 offset:3744
	ds_read_b64 v[50:51], v84 offset:7800
	;; [unrolled: 1-line block ×4, first 2 shown]
	s_waitcnt lgkmcnt(0)
	v_mov_b32_e32 v52, v47
.LBB0_3:
	s_or_b64 exec, exec, s[0:1]
	s_mov_b64 s[0:1], 0x9c
	v_lshl_add_u64 v[42:43], v[88:89], 0, s[0:1]
	s_mov_b64 s[0:1], 0x138
	v_lshl_add_u64 v[40:41], v[88:89], 0, s[0:1]
	s_movk_i32 s0, 0x4f
	v_mul_lo_u16_sdwa v4, v88, s0 dst_sel:DWORD dst_unused:UNUSED_PAD src0_sel:BYTE_0 src1_sel:DWORD
	v_lshrrev_b16_e32 v43, 10, v4
	v_mul_lo_u16_e32 v4, 13, v43
	v_sub_u16_e32 v4, v88, v4
	v_and_b32_e32 v47, 0xff, v4
	v_mad_u64_u32 v[4:5], s[0:1], v47, 24, s[6:7]
	s_movk_i32 s0, 0x4ec5
	global_load_dwordx2 v[120:121], v[4:5], off offset:16
	global_load_dwordx4 v[12:15], v[4:5], off
	v_mul_u32_u24_sdwa v4, v42, s0 dst_sel:DWORD dst_unused:UNUSED_PAD src0_sel:WORD_0 src1_sel:DWORD
	v_lshrrev_b32_e32 v59, 18, v4
	v_mul_lo_u16_e32 v4, 13, v59
	v_sub_u16_e32 v68, v42, v4
	v_mul_lo_u16_e32 v4, 24, v68
	v_mov_b32_e32 v5, 0
	v_lshl_add_u64 v[8:9], s[6:7], 0, v[4:5]
	v_mul_u32_u24_sdwa v4, v40, s0 dst_sel:DWORD dst_unused:UNUSED_PAD src0_sel:WORD_0 src1_sel:DWORD
	v_lshrrev_b32_e32 v69, 18, v4
	v_mul_lo_u16_e32 v4, 13, v69
	v_sub_u16_e32 v70, v40, v4
	v_mul_lo_u16_e32 v4, 24, v70
	v_add_u16_e32 v41, 0x1d4, v88
	v_lshl_add_u64 v[54:55], s[6:7], 0, v[4:5]
	v_mul_u32_u24_e32 v4, 0x4ec5, v41
	v_lshrrev_b32_e32 v4, 18, v4
	v_accvgpr_write_b32 a20, v4
	v_mul_lo_u16_e32 v4, 13, v4
	v_sub_u16_e32 v4, v41, v4
	v_accvgpr_write_b32 a21, v4
	v_mul_lo_u16_e32 v4, 24, v4
	v_lshl_add_u64 v[10:11], s[6:7], 0, v[4:5]
	global_load_dwordx4 v[16:19], v[10:11], off
	global_load_dwordx2 v[122:123], v[10:11], off offset:16
	global_load_dwordx4 v[4:7], v[8:9], off
	global_load_dwordx2 v[116:117], v[8:9], off offset:16
	v_mul_u32_u24_e32 v8, 52, v43
	v_add_lshl_u32 v43, v8, v47, 3
	global_load_dwordx4 v[8:11], v[54:55], off
	global_load_dwordx2 v[118:119], v[54:55], off offset:16
	v_mov_b32_e32 v56, v51
	v_mov_b32_e32 v58, v45
	s_waitcnt lgkmcnt(0)
	s_barrier
	v_accvgpr_write_b32 a22, v43
	s_waitcnt vmcnt(7)
	v_pk_mul_f32 v[62:63], v[26:27], v[120:121] op_sel:[0,1]
	s_waitcnt vmcnt(6)
	v_pk_mul_f32 v[54:55], v[2:3], v[12:13] op_sel:[0,1]
	v_mov_b32_e32 v60, v15
	v_pk_fma_f32 v[64:65], v[2:3], v[12:13], v[54:55] op_sel:[0,0,1] op_sel_hi:[1,1,0] neg_lo:[0,0,1] neg_hi:[0,0,1]
	v_pk_fma_f32 v[2:3], v[2:3], v[12:13], v[54:55] op_sel:[0,0,1] op_sel_hi:[1,0,0]
	v_pk_mul_f32 v[54:55], v[36:37], v[60:61] op_sel_hi:[1,0]
	v_pk_fma_f32 v[60:61], v[26:27], v[120:121], v[62:63] op_sel:[0,0,1] op_sel_hi:[1,1,0] neg_lo:[0,0,1] neg_hi:[0,0,1]
	v_pk_fma_f32 v[26:27], v[26:27], v[120:121], v[62:63] op_sel:[0,0,1] op_sel_hi:[1,0,0]
	v_mov_b32_e32 v65, v3
	v_pk_fma_f32 v[2:3], v[36:37], v[14:15], v[54:55] op_sel:[0,0,1] op_sel_hi:[1,1,0] neg_lo:[0,0,1] neg_hi:[0,0,1]
	v_pk_fma_f32 v[36:37], v[36:37], v[14:15], v[54:55] op_sel:[0,0,1] op_sel_hi:[1,0,0]
	v_mov_b32_e32 v61, v27
	v_mov_b32_e32 v3, v37
	v_pk_add_f32 v[36:37], v[64:65], v[60:61] neg_lo:[0,1] neg_hi:[0,1]
	v_pk_add_f32 v[2:3], v[32:33], v[2:3] neg_lo:[0,1] neg_hi:[0,1]
	s_waitcnt vmcnt(5)
	v_pk_mul_f32 v[26:27], v[50:51], v[16:17] op_sel_hi:[0,1]
	v_pk_mul_f32 v[52:53], v[52:53], v[18:19] op_sel_hi:[0,1]
	s_waitcnt vmcnt(4)
	v_pk_mul_f32 v[54:55], v[44:45], v[122:123] op_sel_hi:[0,1]
	v_pk_fma_f32 v[50:51], v[50:51], v[16:17], v[26:27] op_sel:[0,0,1] op_sel_hi:[1,1,0] neg_lo:[1,0,0] neg_hi:[1,0,0]
	v_pk_fma_f32 v[26:27], v[56:57], v[16:17], v[26:27] op_sel:[0,0,1] op_sel_hi:[0,1,0]
	v_pk_fma_f32 v[56:57], v[46:47], v[18:19], v[52:53] op_sel:[0,0,1] op_sel_hi:[0,1,0]
	v_pk_fma_f32 v[46:47], v[46:47], v[18:19], v[52:53] op_sel:[0,0,1] op_sel_hi:[0,1,0] neg_lo:[0,0,1] neg_hi:[0,0,1]
	v_pk_fma_f32 v[44:45], v[44:45], v[122:123], v[54:55] op_sel:[0,0,1] op_sel_hi:[1,1,0] neg_lo:[1,0,0] neg_hi:[1,0,0]
	v_pk_fma_f32 v[52:53], v[58:59], v[122:123], v[54:55] op_sel:[0,0,1] op_sel_hi:[0,1,0]
	v_pk_fma_f32 v[54:55], v[64:65], 2.0, v[36:37] op_sel_hi:[1,0,1] neg_lo:[0,0,1] neg_hi:[0,0,1]
	v_mov_b32_e32 v27, v51
	v_mov_b32_e32 v47, v57
	;; [unrolled: 1-line block ×3, first 2 shown]
	v_pk_fma_f32 v[32:33], v[32:33], 2.0, v[2:3] op_sel_hi:[1,0,1] neg_lo:[0,0,1] neg_hi:[0,0,1]
	v_pk_add_f32 v[44:45], v[2:3], v[36:37] op_sel:[0,1] op_sel_hi:[1,0] neg_lo:[0,1] neg_hi:[0,1]
	v_pk_add_f32 v[36:37], v[2:3], v[36:37] op_sel:[0,1] op_sel_hi:[1,0]
	v_pk_add_f32 v[46:47], v[48:49], v[46:47] neg_lo:[0,1] neg_hi:[0,1]
	v_pk_add_f32 v[50:51], v[26:27], v[52:53] neg_lo:[0,1] neg_hi:[0,1]
	;; [unrolled: 1-line block ×3, first 2 shown]
	v_mov_b32_e32 v45, v37
	v_pk_fma_f32 v[36:37], v[48:49], 2.0, v[46:47] op_sel_hi:[1,0,1] neg_lo:[0,0,1] neg_hi:[0,0,1]
	v_pk_fma_f32 v[26:27], v[26:27], 2.0, v[50:51] op_sel_hi:[1,0,1] neg_lo:[0,0,1] neg_hi:[0,0,1]
	;; [unrolled: 1-line block ×4, first 2 shown]
	v_pk_add_f32 v[62:63], v[36:37], v[26:27] op_sel:[0,1] op_sel_hi:[1,0] neg_lo:[0,1] neg_hi:[0,1]
	ds_write2_b64 v43, v[32:33], v[2:3] offset1:13
	v_mad_legacy_u16 v2, v59, 52, v68
	v_pk_fma_f32 v[60:61], v[36:37], 2.0, v[62:63] op_sel_hi:[1,0,1] neg_lo:[0,0,1] neg_hi:[0,0,1]
	v_lshlrev_b32_e32 v36, 3, v2
	s_waitcnt vmcnt(3)
	v_mov_b32_e32 v2, v7
	v_pk_mul_f32 v[2:3], v[38:39], v[2:3] op_sel_hi:[1,0]
	ds_write2_b64 v43, v[52:53], v[44:45] offset0:26 offset1:39
	v_pk_fma_f32 v[26:27], v[38:39], v[6:7], v[2:3] op_sel:[0,0,1] op_sel_hi:[1,1,0] neg_lo:[0,0,1] neg_hi:[0,0,1]
	v_pk_fma_f32 v[2:3], v[38:39], v[6:7], v[2:3] op_sel:[0,0,1] op_sel_hi:[1,0,0]
	v_pk_add_f32 v[48:49], v[46:47], v[50:51]
	v_mov_b32_e32 v27, v3
	v_pk_mul_f32 v[2:3], v[20:21], v[4:5] op_sel_hi:[1,0]
	v_pk_add_f32 v[124:125], v[46:47], v[50:51] neg_lo:[0,1] neg_hi:[0,1]
	v_pk_fma_f32 v[32:33], v[20:21], v[4:5], v[2:3] op_sel:[0,1,1] op_sel_hi:[1,1,0]
	v_pk_fma_f32 v[2:3], v[20:21], v[4:5], v[2:3] op_sel:[0,1,1] op_sel_hi:[1,1,0] neg_lo:[1,0,0] neg_hi:[1,0,0]
	v_mov_b32_e32 v125, v49
	v_mov_b32_e32 v33, v3
	s_waitcnt vmcnt(2)
	v_pk_mul_f32 v[2:3], v[28:29], v[116:117] op_sel_hi:[1,0]
	v_pk_fma_f32 v[66:67], v[46:47], 2.0, v[124:125] op_sel_hi:[1,0,1] neg_lo:[0,0,1] neg_hi:[0,0,1]
	v_pk_fma_f32 v[20:21], v[28:29], v[116:117], v[2:3] op_sel:[0,1,1] op_sel_hi:[1,1,0]
	v_pk_fma_f32 v[2:3], v[28:29], v[116:117], v[2:3] op_sel:[0,1,1] op_sel_hi:[1,1,0] neg_lo:[1,0,0] neg_hi:[1,0,0]
	v_accvgpr_write_b32 a23, v36
	v_mov_b32_e32 v21, v3
	v_pk_add_f32 v[2:3], v[34:35], v[26:27] neg_lo:[0,1] neg_hi:[0,1]
	v_pk_add_f32 v[20:21], v[32:33], v[20:21] neg_lo:[0,1] neg_hi:[0,1]
	s_nop 0
	v_pk_add_f32 v[26:27], v[2:3], v[20:21] neg_lo:[0,1] neg_hi:[0,1]
	v_pk_add_f32 v[28:29], v[2:3], v[20:21]
	v_pk_fma_f32 v[20:21], v[32:33], 2.0, v[20:21] op_sel_hi:[1,0,1] neg_lo:[0,0,1] neg_hi:[0,0,1]
	v_mov_b32_e32 v27, v29
	v_pk_fma_f32 v[28:29], v[2:3], 2.0, v[26:27] op_sel_hi:[1,0,1] neg_lo:[0,0,1] neg_hi:[0,0,1]
	v_pk_fma_f32 v[2:3], v[34:35], 2.0, v[2:3] op_sel_hi:[1,0,1] neg_lo:[0,0,1] neg_hi:[0,0,1]
	s_nop 0
	v_pk_add_f32 v[20:21], v[2:3], v[20:21] op_sel:[0,1] op_sel_hi:[1,0] neg_lo:[0,1] neg_hi:[0,1]
	ds_write2_b64 v36, v[20:21], v[26:27] offset0:26 offset1:39
	v_pk_fma_f32 v[2:3], v[2:3], 2.0, v[20:21] op_sel_hi:[1,0,1] neg_lo:[0,0,1] neg_hi:[0,0,1]
	ds_write2_b64 v36, v[2:3], v[28:29] offset1:13
	v_mad_legacy_u16 v2, v69, 52, v70
	v_lshlrev_b32_e32 v28, 3, v2
	s_waitcnt vmcnt(1)
	v_mov_b32_e32 v2, v11
	v_pk_mul_f32 v[2:3], v[24:25], v[2:3] op_sel_hi:[1,0]
	v_accvgpr_write_b32 a24, v28
	v_pk_fma_f32 v[20:21], v[24:25], v[10:11], v[2:3] op_sel:[0,0,1] op_sel_hi:[1,1,0] neg_lo:[0,0,1] neg_hi:[0,0,1]
	v_pk_fma_f32 v[2:3], v[24:25], v[10:11], v[2:3] op_sel:[0,0,1] op_sel_hi:[1,0,0]
	s_nop 0
	v_mov_b32_e32 v21, v3
	v_pk_mul_f32 v[2:3], v[22:23], v[8:9] op_sel_hi:[1,0]
	s_nop 0
	v_pk_fma_f32 v[24:25], v[22:23], v[8:9], v[2:3] op_sel:[0,1,1] op_sel_hi:[1,1,0]
	v_pk_fma_f32 v[2:3], v[22:23], v[8:9], v[2:3] op_sel:[0,1,1] op_sel_hi:[1,1,0] neg_lo:[1,0,0] neg_hi:[1,0,0]
	s_nop 0
	v_mov_b32_e32 v25, v3
	s_waitcnt vmcnt(0)
	v_pk_mul_f32 v[2:3], v[30:31], v[118:119] op_sel_hi:[1,0]
	s_nop 0
	v_pk_fma_f32 v[22:23], v[30:31], v[118:119], v[2:3] op_sel:[0,1,1] op_sel_hi:[1,1,0]
	v_pk_fma_f32 v[2:3], v[30:31], v[118:119], v[2:3] op_sel:[0,1,1] op_sel_hi:[1,1,0] neg_lo:[1,0,0] neg_hi:[1,0,0]
	s_nop 0
	v_mov_b32_e32 v23, v3
	v_pk_add_f32 v[2:3], v[0:1], v[20:21] neg_lo:[0,1] neg_hi:[0,1]
	v_pk_add_f32 v[20:21], v[24:25], v[22:23] neg_lo:[0,1] neg_hi:[0,1]
	v_pk_fma_f32 v[0:1], v[0:1], 2.0, v[2:3] op_sel_hi:[1,0,1] neg_lo:[0,0,1] neg_hi:[0,0,1]
	v_pk_add_f32 v[22:23], v[2:3], v[20:21] neg_lo:[0,1] neg_hi:[0,1]
	v_pk_add_f32 v[26:27], v[2:3], v[20:21]
	s_nop 0
	v_mov_b32_e32 v23, v27
	v_pk_fma_f32 v[26:27], v[2:3], 2.0, v[22:23] op_sel_hi:[1,0,1] neg_lo:[0,0,1] neg_hi:[0,0,1]
	v_pk_fma_f32 v[2:3], v[24:25], 2.0, v[20:21] op_sel_hi:[1,0,1] neg_lo:[0,0,1] neg_hi:[0,0,1]
	s_nop 0
	v_pk_add_f32 v[2:3], v[0:1], v[2:3] op_sel:[0,1] op_sel_hi:[1,0] neg_lo:[0,1] neg_hi:[0,1]
	ds_write2_b64 v28, v[2:3], v[22:23] offset0:26 offset1:39
	v_pk_fma_f32 v[0:1], v[0:1], 2.0, v[2:3] op_sel_hi:[1,0,1] neg_lo:[0,0,1] neg_hi:[0,0,1]
	ds_write2_b64 v28, v[0:1], v[26:27] offset1:13
	s_and_saveexec_b64 s[0:1], vcc
	s_cbranch_execz .LBB0_5
; %bb.4:
	v_accvgpr_read_b32 v0, a20
	v_accvgpr_read_b32 v1, a21
	v_mad_legacy_u16 v0, v0, 52, v1
	v_lshlrev_b32_e32 v0, 3, v0
	ds_write2_b64 v0, v[60:61], v[66:67] offset1:13
	ds_write2_b64 v0, v[62:63], v[124:125] offset0:26 offset1:39
.LBB0_5:
	s_or_b64 exec, exec, s[0:1]
	v_add_u32_e32 v0, 0x1400, v84
	s_waitcnt lgkmcnt(0)
	s_barrier
	ds_read2_b64 v[56:59], v0 offset0:36 offset1:192
	v_add_u32_e32 v0, 0x2800, v84
	ds_read2_b64 v[52:55], v0 offset0:72 offset1:228
	v_add_u32_e32 v0, 0x800, v84
	;; [unrolled: 2-line block ×4, first 2 shown]
	ds_read2_b64 v[48:51], v84 offset1:156
	ds_read2_b64 v[36:39], v0 offset1:156
	v_cmp_gt_u16_e64 s[0:1], 52, v88
	s_and_saveexec_b64 s[14:15], s[0:1]
	s_cbranch_execz .LBB0_7
; %bb.6:
	ds_read_b64 v[60:61], v84 offset:4992
	ds_read_b64 v[66:67], v84 offset:10400
	;; [unrolled: 1-line block ×3, first 2 shown]
.LBB0_7:
	s_or_b64 exec, exec, s[14:15]
	s_movk_i32 s14, 0x4f
	v_mul_lo_u16_sdwa v0, v88, s14 dst_sel:DWORD dst_unused:UNUSED_PAD src0_sel:BYTE_0 src1_sel:DWORD
	v_lshrrev_b16_e32 v70, 12, v0
	v_mul_lo_u16_e32 v0, 52, v70
	v_sub_u16_e32 v0, v88, v0
	s_movk_i32 s14, 0x4ec5
	v_and_b32_e32 v71, 0xff, v0
	v_mul_u32_u24_sdwa v0, v42, s14 dst_sel:DWORD dst_unused:UNUSED_PAD src0_sel:WORD_0 src1_sel:DWORD
	v_lshrrev_b32_e32 v72, 20, v0
	v_mul_lo_u16_e32 v0, 52, v72
	v_sub_u16_e32 v73, v42, v0
	v_lshlrev_b16_e32 v64, 4, v73
	v_mov_b32_e32 v65, 0
	v_lshlrev_b32_e32 v3, 4, v71
	v_lshl_add_u64 v[0:1], s[6:7], 0, v[64:65]
	global_load_dwordx4 v[24:27], v3, s[6:7] offset:312
	global_load_dwordx4 v[20:23], v[0:1], off offset:312
	v_mul_u32_u24_sdwa v0, v40, s14 dst_sel:DWORD dst_unused:UNUSED_PAD src0_sel:WORD_0 src1_sel:DWORD
	v_lshrrev_b32_e32 v78, 20, v0
	v_mul_lo_u16_e32 v0, 52, v78
	v_sub_u16_e32 v79, v40, v0
	v_mul_u32_u24_e32 v0, 0x4ec5, v41
	v_lshrrev_b32_e32 v80, 20, v0
	v_add_u32_e32 v2, 0x270, v88
	v_mul_lo_u16_e32 v0, 52, v80
	v_sub_u16_e32 v81, v41, v0
	v_mul_u32_u24_sdwa v0, v2, s14 dst_sel:DWORD dst_unused:UNUSED_PAD src0_sel:WORD_0 src1_sel:DWORD
	v_lshrrev_b32_e32 v0, 20, v0
	v_lshlrev_b16_e32 v64, 4, v79
	v_mul_lo_u16_e32 v0, 52, v0
	v_lshl_add_u64 v[42:43], s[6:7], 0, v[64:65]
	v_lshlrev_b16_e32 v64, 4, v81
	v_sub_u16_e32 v82, v2, v0
	v_lshl_add_u64 v[40:41], s[6:7], 0, v[64:65]
	v_lshlrev_b16_e32 v64, 4, v82
	v_lshl_add_u64 v[68:69], s[6:7], 0, v[64:65]
	global_load_dwordx4 v[0:3], v[68:69], off offset:312
	global_load_dwordx4 v[28:31], v[42:43], off offset:312
	s_movk_i32 s15, 0x9c
	v_mul_u32_u24_e32 v42, 0x9c, v70
	v_mad_legacy_u16 v43, v72, s15, v73
	v_add_lshl_u32 v225, v42, v71, 3
	v_lshlrev_b32_e32 v83, 3, v43
	global_load_dwordx4 v[40:43], v[40:41], off offset:312
	s_mov_b32 s14, 0x3f5db3d7
	s_waitcnt lgkmcnt(0)
	s_barrier
	v_accvgpr_write_b32 a25, v83
	s_waitcnt vmcnt(4)
	v_pk_mul_f32 v[68:69], v[56:57], v[24:25] op_sel:[0,1]
	v_mov_b32_e32 v64, v27
	s_waitcnt vmcnt(3)
	v_pk_mul_f32 v[70:71], v[58:59], v[20:21] op_sel:[0,1]
	v_mov_b32_e32 v72, v23
	v_pk_fma_f32 v[74:75], v[56:57], v[24:25], v[68:69] op_sel:[0,0,1] op_sel_hi:[1,1,0] neg_lo:[0,0,1] neg_hi:[0,0,1]
	v_pk_fma_f32 v[56:57], v[56:57], v[24:25], v[68:69] op_sel:[0,0,1] op_sel_hi:[1,0,0]
	v_pk_mul_f32 v[68:69], v[52:53], v[64:65] op_sel_hi:[1,0]
	v_pk_fma_f32 v[76:77], v[58:59], v[20:21], v[70:71] op_sel:[0,0,1] op_sel_hi:[1,1,0] neg_lo:[0,0,1] neg_hi:[0,0,1]
	v_pk_fma_f32 v[58:59], v[58:59], v[20:21], v[70:71] op_sel:[0,0,1] op_sel_hi:[1,0,0]
	v_pk_mul_f32 v[70:71], v[54:55], v[72:73] op_sel_hi:[1,0]
	v_mov_b32_e32 v75, v57
	v_pk_fma_f32 v[56:57], v[52:53], v[26:27], v[68:69] op_sel:[0,0,1] op_sel_hi:[1,1,0] neg_lo:[0,0,1] neg_hi:[0,0,1]
	v_pk_fma_f32 v[52:53], v[52:53], v[26:27], v[68:69] op_sel:[0,0,1] op_sel_hi:[1,0,0]
	v_mov_b32_e32 v77, v59
	v_pk_fma_f32 v[58:59], v[54:55], v[22:23], v[70:71] op_sel:[0,0,1] op_sel_hi:[1,1,0] neg_lo:[0,0,1] neg_hi:[0,0,1]
	v_pk_fma_f32 v[54:55], v[54:55], v[22:23], v[70:71] op_sel:[0,0,1] op_sel_hi:[1,0,0]
	v_mov_b32_e32 v57, v53
	v_pk_add_f32 v[52:53], v[48:49], v[74:75]
	v_mov_b32_e32 v59, v55
	v_pk_add_f32 v[72:73], v[74:75], v[56:57]
	s_waitcnt vmcnt(2)
	v_pk_mul_f32 v[68:69], v[66:67], v[0:1] op_sel_hi:[0,1]
	v_pk_mul_f32 v[70:71], v[62:63], v[2:3] op_sel_hi:[0,1]
	v_pk_fma_f32 v[54:55], v[66:67], v[0:1], v[68:69] op_sel:[0,0,1] op_sel_hi:[1,1,0] neg_lo:[1,0,0] neg_hi:[1,0,0]
	v_pk_fma_f32 v[66:67], v[66:67], v[0:1], v[68:69] op_sel:[1,0,1] op_sel_hi:[1,1,0]
	v_pk_fma_f32 v[68:69], v[62:63], v[2:3], v[70:71] op_sel:[0,0,1] op_sel_hi:[1,1,0] neg_lo:[1,0,0] neg_hi:[1,0,0]
	v_pk_fma_f32 v[62:63], v[62:63], v[2:3], v[70:71] op_sel:[1,0,1] op_sel_hi:[1,1,0]
	v_pk_add_f32 v[70:71], v[52:53], v[56:57]
	v_pk_add_f32 v[56:57], v[74:75], v[56:57] neg_lo:[0,1] neg_hi:[0,1]
	v_mov_b32_e32 v67, v55
	v_mov_b32_e32 v63, v69
	;; [unrolled: 1-line block ×6, first 2 shown]
	v_pk_fma_f32 v[48:49], v[72:73], 0.5, v[48:49] op_sel_hi:[1,0,1] neg_lo:[1,0,0] neg_hi:[1,0,0]
	v_pk_mul_f32 v[56:57], v[56:57], s[14:15] op_sel_hi:[1,0]
	v_pk_add_f32 v[68:69], v[52:53], v[54:55]
	v_pk_add_f32 v[62:63], v[66:67], v[62:63] neg_lo:[0,1] neg_hi:[0,1]
	v_pk_add_f32 v[66:67], v[48:49], v[56:57] op_sel:[0,1] op_sel_hi:[1,0]
	v_pk_add_f32 v[48:49], v[48:49], v[56:57] op_sel:[0,1] op_sel_hi:[1,0] neg_lo:[0,1] neg_hi:[0,1]
	v_pk_fma_f32 v[56:57], v[68:69], 0.5, v[60:61] op_sel_hi:[1,0,1] neg_lo:[1,0,0] neg_hi:[1,0,0]
	v_mov_b32_e32 v68, v66
	v_mov_b32_e32 v69, v49
	;; [unrolled: 1-line block ×3, first 2 shown]
	v_pk_fma_f32 v[126:127], v[62:63], s[14:15], v[56:57] op_sel_hi:[1,0,1] neg_lo:[1,0,0] neg_hi:[1,0,0]
	v_pk_fma_f32 v[128:129], v[62:63], s[14:15], v[56:57] op_sel_hi:[1,0,1]
	ds_write2_b64 v225, v[70:71], v[68:69] offset1:52
	ds_write_b64 v225, v[48:49] offset:832
	v_pk_add_f32 v[48:49], v[76:77], v[58:59]
	v_pk_add_f32 v[56:57], v[76:77], v[58:59] neg_lo:[0,1] neg_hi:[0,1]
	v_pk_fma_f32 v[48:49], v[48:49], 0.5, v[50:51] op_sel_hi:[1,0,1] neg_lo:[1,0,0] neg_hi:[1,0,0]
	v_pk_mul_f32 v[56:57], v[56:57], s[14:15] op_sel_hi:[1,0]
	v_pk_add_f32 v[50:51], v[50:51], v[76:77]
	v_pk_add_f32 v[62:63], v[48:49], v[56:57] op_sel:[0,1] op_sel_hi:[1,0] neg_lo:[0,1] neg_hi:[0,1]
	v_pk_add_f32 v[48:49], v[48:49], v[56:57] op_sel:[0,1] op_sel_hi:[1,0]
	v_pk_add_f32 v[50:51], v[50:51], v[58:59]
	v_mov_b32_e32 v56, v48
	v_mad_legacy_u16 v48, v78, s15, v79
	v_mov_b32_e32 v57, v63
	v_mov_b32_e32 v63, v49
	v_lshlrev_b32_e32 v89, 3, v48
	s_waitcnt vmcnt(1)
	v_pk_mul_f32 v[48:49], v[44:45], v[28:29] op_sel:[0,1]
	ds_write2_b64 v83, v[50:51], v[56:57] offset1:52
	v_pk_fma_f32 v[50:51], v[44:45], v[28:29], v[48:49] op_sel:[0,0,1] op_sel_hi:[1,1,0] neg_lo:[0,0,1] neg_hi:[0,0,1]
	v_pk_fma_f32 v[44:45], v[44:45], v[28:29], v[48:49] op_sel:[0,0,1] op_sel_hi:[1,0,0]
	ds_write_b64 v83, v[62:63] offset:832
	v_mov_b32_e32 v44, v31
	v_mov_b32_e32 v51, v45
	v_pk_mul_f32 v[44:45], v[36:37], v[44:45] op_sel_hi:[1,0]
	s_nop 0
	v_pk_fma_f32 v[48:49], v[36:37], v[30:31], v[44:45] op_sel:[0,0,1] op_sel_hi:[1,1,0] neg_lo:[0,0,1] neg_hi:[0,0,1]
	v_pk_fma_f32 v[36:37], v[36:37], v[30:31], v[44:45] op_sel:[0,0,1] op_sel_hi:[1,0,0]
	s_nop 0
	v_mov_b32_e32 v49, v37
	v_pk_add_f32 v[36:37], v[50:51], v[48:49]
	v_pk_add_f32 v[44:45], v[50:51], v[48:49] neg_lo:[0,1] neg_hi:[0,1]
	v_pk_fma_f32 v[36:37], v[36:37], 0.5, v[32:33] op_sel_hi:[1,0,1] neg_lo:[1,0,0] neg_hi:[1,0,0]
	v_pk_mul_f32 v[44:45], v[44:45], s[14:15] op_sel_hi:[1,0]
	v_pk_add_f32 v[32:33], v[32:33], v[50:51]
	v_pk_add_f32 v[56:57], v[36:37], v[44:45] op_sel:[0,1] op_sel_hi:[1,0] neg_lo:[0,1] neg_hi:[0,1]
	v_pk_add_f32 v[36:37], v[36:37], v[44:45] op_sel:[0,1] op_sel_hi:[1,0]
	v_pk_add_f32 v[32:33], v[32:33], v[48:49]
	v_mov_b32_e32 v44, v36
	v_mov_b32_e32 v45, v57
	ds_write2_b64 v89, v[32:33], v[44:45] offset1:52
	v_mad_legacy_u16 v32, v80, s15, v81
	v_lshlrev_b32_e32 v220, 3, v32
	s_waitcnt vmcnt(0)
	v_pk_mul_f32 v[32:33], v[46:47], v[40:41] op_sel:[0,1]
	v_mov_b32_e32 v57, v37
	v_pk_fma_f32 v[36:37], v[46:47], v[40:41], v[32:33] op_sel:[0,0,1] op_sel_hi:[1,1,0] neg_lo:[0,0,1] neg_hi:[0,0,1]
	v_pk_fma_f32 v[32:33], v[46:47], v[40:41], v[32:33] op_sel:[0,0,1] op_sel_hi:[1,0,0]
	ds_write_b64 v89, v[56:57] offset:832
	v_mov_b32_e32 v32, v43
	v_mov_b32_e32 v37, v33
	v_pk_mul_f32 v[32:33], v[38:39], v[32:33] op_sel_hi:[1,0]
	s_nop 0
	v_pk_fma_f32 v[44:45], v[38:39], v[42:43], v[32:33] op_sel:[0,0,1] op_sel_hi:[1,1,0] neg_lo:[0,0,1] neg_hi:[0,0,1]
	v_pk_fma_f32 v[32:33], v[38:39], v[42:43], v[32:33] op_sel:[0,0,1] op_sel_hi:[1,0,0]
	s_nop 0
	v_mov_b32_e32 v45, v33
	v_pk_add_f32 v[32:33], v[36:37], v[44:45]
	v_pk_add_f32 v[38:39], v[36:37], v[44:45] neg_lo:[0,1] neg_hi:[0,1]
	v_pk_fma_f32 v[32:33], v[32:33], 0.5, v[34:35] op_sel_hi:[1,0,1] neg_lo:[1,0,0] neg_hi:[1,0,0]
	v_pk_mul_f32 v[38:39], v[38:39], s[14:15] op_sel_hi:[1,0]
	v_pk_add_f32 v[34:35], v[34:35], v[36:37]
	v_pk_add_f32 v[46:47], v[32:33], v[38:39] op_sel:[0,1] op_sel_hi:[1,0] neg_lo:[0,1] neg_hi:[0,1]
	v_pk_add_f32 v[32:33], v[32:33], v[38:39] op_sel:[0,1] op_sel_hi:[1,0]
	v_pk_add_f32 v[34:35], v[34:35], v[44:45]
	v_mov_b32_e32 v36, v32
	v_lshlrev_b32_e32 v32, 3, v82
	v_mov_b32_e32 v37, v47
	v_mov_b32_e32 v47, v33
	v_accvgpr_write_b32 a26, v32
	ds_write2_b64 v220, v[34:35], v[36:37] offset1:52
	ds_write_b64 v220, v[46:47] offset:832
	s_and_saveexec_b64 s[14:15], s[0:1]
	s_cbranch_execz .LBB0_9
; %bb.8:
	v_pk_add_f32 v[32:33], v[60:61], v[52:53]
	v_accvgpr_read_b32 v37, a26
	v_pk_add_f32 v[32:33], v[32:33], v[54:55]
	v_mov_b32_e32 v34, v128
	v_mov_b32_e32 v35, v127
	v_add_u32_e32 v36, 0x3800, v37
	ds_write2_b64 v36, v[32:33], v[34:35] offset0:80 offset1:132
	v_mov_b32_e32 v32, v126
	v_mov_b32_e32 v33, v129
	ds_write_b64 v37, v[32:33] offset:15808
.LBB0_9:
	s_or_b64 exec, exec, s[14:15]
	s_movk_i32 s14, 0x60
	v_mov_b64_e32 v[32:33], s[6:7]
	v_mad_u64_u32 v[60:61], s[6:7], v88, s14, v[32:33]
	s_waitcnt lgkmcnt(0)
	s_barrier
	global_load_dwordx4 v[36:39], v[60:61], off offset:1144
	global_load_dwordx4 v[32:35], v[60:61], off offset:1160
	;; [unrolled: 1-line block ×6, first 2 shown]
	ds_read2_b64 v[60:63], v84 offset1:156
	v_add_u32_e32 v64, 0x1200, v84
	v_add_u32_e32 v221, 0x800, v84
	;; [unrolled: 1-line block ×5, first 2 shown]
	ds_read_b64 v[82:83], v84 offset:14976
	ds_read2_b64 v[66:69], v64 offset0:48 offset1:204
	ds_read2_b64 v[70:73], v221 offset0:56 offset1:212
	ds_read2_b64 v[74:77], v222 offset0:40 offset1:196
	ds_read2_b64 v[78:81], v223 offset0:96 offset1:252
	ds_read2_b64 v[130:133], v224 offset0:24 offset1:180
	s_waitcnt lgkmcnt(6)
	v_mov_b32_e32 v134, v63
	s_waitcnt lgkmcnt(3)
	v_mov_b32_e32 v136, v71
	v_mov_b32_e32 v138, v73
	s_mov_b32 s30, 0xbeedf032
	s_mov_b32 s31, 0x3f62ad3f
	;; [unrolled: 1-line block ×35, first 2 shown]
	s_waitcnt vmcnt(5)
	v_pk_mul_f32 v[140:141], v[62:63], v[36:37]
	v_pk_mul_f32 v[142:143], v[70:71], v[38:39]
	v_mov_b32_e32 v140, v37
	v_mov_b32_e32 v142, v39
	s_waitcnt vmcnt(4)
	v_mov_b32_e32 v146, v35
	s_waitcnt vmcnt(3)
	v_pk_mul_f32 v[148:149], v[68:69], v[48:49] op_sel:[0,1]
	v_mov_b32_e32 v150, v51
	s_waitcnt vmcnt(2)
	v_mov_b32_e32 v154, v47
	s_waitcnt lgkmcnt(2)
	v_pk_mul_f32 v[152:153], v[76:77], v[44:45] op_sel:[0,1]
	s_waitcnt vmcnt(1)
	v_mov_b32_e32 v158, v59
	s_waitcnt vmcnt(0)
	v_mov_b32_e32 v162, v55
	v_mov_b32_e32 v164, v141
	v_pk_mul_f32 v[140:141], v[62:63], v[140:141]
	v_mov_b32_e32 v166, v143
	v_pk_mul_f32 v[142:143], v[70:71], v[142:143]
	v_pk_mul_f32 v[146:147], v[66:67], v[146:147] op_sel_hi:[1,0]
	v_pk_fma_f32 v[170:171], v[68:69], v[48:49], v[148:149] op_sel:[0,0,1] op_sel_hi:[1,1,0] neg_lo:[0,0,1] neg_hi:[0,0,1]
	v_pk_fma_f32 v[68:69], v[68:69], v[48:49], v[148:149] op_sel:[0,0,1] op_sel_hi:[1,0,0]
	v_pk_mul_f32 v[148:149], v[74:75], v[150:151] op_sel_hi:[1,0]
	s_waitcnt lgkmcnt(1)
	v_pk_mul_f32 v[150:151], v[78:79], v[154:155] op_sel_hi:[1,0]
	v_pk_fma_f32 v[172:173], v[76:77], v[44:45], v[152:153] op_sel:[0,0,1] op_sel_hi:[1,1,0] neg_lo:[0,0,1] neg_hi:[0,0,1]
	v_pk_fma_f32 v[76:77], v[76:77], v[44:45], v[152:153] op_sel:[0,0,1] op_sel_hi:[1,0,0]
	s_waitcnt lgkmcnt(0)
	v_pk_mul_f32 v[152:153], v[130:131], v[158:159] op_sel_hi:[1,0]
	v_pk_mul_f32 v[158:159], v[82:83], v[162:163] op_sel_hi:[1,0]
	v_pk_fma_f32 v[162:163], v[62:63], v[36:37], v[164:165] neg_lo:[0,0,1] neg_hi:[0,0,1]
	v_pk_fma_f32 v[134:135], v[134:135], v[36:37], v[140:141]
	v_pk_fma_f32 v[136:137], v[136:137], v[38:39], v[142:143]
	v_pk_fma_f32 v[140:141], v[66:67], v[34:35], v[146:147] op_sel:[0,0,1] op_sel_hi:[1,1,0] neg_lo:[0,0,1] neg_hi:[0,0,1]
	v_pk_fma_f32 v[62:63], v[66:67], v[34:35], v[146:147] op_sel:[0,0,1] op_sel_hi:[1,0,0]
	v_mov_b32_e32 v171, v69
	v_pk_fma_f32 v[142:143], v[74:75], v[50:51], v[148:149] op_sel:[0,0,1] op_sel_hi:[1,1,0] neg_lo:[0,0,1] neg_hi:[0,0,1]
	v_pk_fma_f32 v[66:67], v[74:75], v[50:51], v[148:149] op_sel:[0,0,1] op_sel_hi:[1,0,0]
	v_pk_fma_f32 v[74:75], v[78:79], v[46:47], v[150:151] op_sel:[0,0,1] op_sel_hi:[1,1,0] neg_lo:[0,0,1] neg_hi:[0,0,1]
	v_pk_fma_f32 v[68:69], v[78:79], v[46:47], v[150:151] op_sel:[0,0,1] op_sel_hi:[1,0,0]
	v_pk_mul_f32 v[144:145], v[72:73], v[32:33]
	v_mov_b32_e32 v75, v69
	v_pk_fma_f32 v[68:69], v[82:83], v[54:55], v[158:159] op_sel:[0,0,1] op_sel_hi:[1,0,0]
	v_mov_b32_e32 v85, v134
	v_mov_b32_e32 v144, v33
	v_pk_mul_f32 v[156:157], v[80:81], v[56:57] op_sel:[0,1]
	v_pk_mul_f32 v[160:161], v[132:133], v[52:53] op_sel:[0,1]
	v_mov_b32_e32 v168, v145
	v_mov_b32_e32 v141, v63
	;; [unrolled: 1-line block ×3, first 2 shown]
	v_pk_fma_f32 v[66:67], v[82:83], v[54:55], v[158:159] op_sel:[0,0,1] op_sel_hi:[1,0,0] neg_lo:[0,0,1] neg_hi:[0,0,1]
	v_pk_add_f32 v[62:63], v[84:85], v[68:69]
	v_pk_mul_f32 v[144:145], v[72:73], v[144:145]
	v_pk_fma_f32 v[154:155], v[80:81], v[56:57], v[156:157] op_sel:[0,0,1] op_sel_hi:[1,1,0] neg_lo:[0,0,1] neg_hi:[0,0,1]
	v_pk_fma_f32 v[80:81], v[80:81], v[56:57], v[156:157] op_sel:[0,0,1] op_sel_hi:[1,0,0]
	v_pk_fma_f32 v[156:157], v[132:133], v[52:53], v[160:161] op_sel:[0,0,1] op_sel_hi:[1,0,0] neg_lo:[0,0,1] neg_hi:[0,0,1]
	v_pk_fma_f32 v[132:133], v[132:133], v[52:53], v[160:161] op_sel:[0,0,1] op_sel_hi:[1,0,0]
	v_pk_fma_f32 v[70:71], v[70:71], v[38:39], v[166:167] neg_lo:[0,0,1] neg_hi:[0,0,1]
	v_pk_fma_f32 v[72:73], v[72:73], v[32:33], v[168:169] neg_lo:[0,0,1] neg_hi:[0,0,1]
	v_mov_b32_e32 v173, v77
	v_pk_fma_f32 v[76:77], v[130:131], v[58:59], v[152:153] op_sel:[0,0,1] op_sel_hi:[1,0,0] neg_lo:[0,0,1] neg_hi:[0,0,1]
	v_pk_add_f32 v[174:175], v[162:163], v[66:67]
	v_pk_add_f32 v[148:149], v[162:163], v[66:67] neg_lo:[0,1] neg_hi:[0,1]
	v_mov_b32_e32 v62, v69
	v_mov_b32_e32 v67, v136
	v_pk_fma_f32 v[138:139], v[138:139], v[32:33], v[144:145]
	v_mov_b32_e32 v155, v81
	v_mov_b32_e32 v80, v156
	;; [unrolled: 1-line block ×6, first 2 shown]
	v_pk_add_f32 v[178:179], v[134:135], v[62:63] neg_lo:[0,1] neg_hi:[0,1]
	v_pk_add_f32 v[176:177], v[70:71], v[156:157]
	v_pk_add_f32 v[66:67], v[66:67], v[132:133]
	v_pk_add_f32 v[134:135], v[70:71], v[156:157] neg_lo:[0,1] neg_hi:[0,1]
	v_mov_b32_e32 v62, v133
	v_pk_add_f32 v[156:157], v[72:73], v[76:77]
	v_pk_add_f32 v[132:133], v[72:73], v[76:77] neg_lo:[0,1] neg_hi:[0,1]
	v_pk_add_f32 v[70:71], v[60:61], v[162:163]
	v_pk_add_f32 v[72:73], v[60:61], v[84:85]
	v_mov_b32_e32 v145, v136
	v_mov_b32_e32 v71, v73
	v_mov_b32_e32 v147, v138
	v_pk_add_f32 v[70:71], v[70:71], v[144:145]
	v_pk_fma_f32 v[78:79], v[130:131], v[58:59], v[152:153] op_sel:[0,0,1] op_sel_hi:[1,0,0]
	v_pk_add_f32 v[70:71], v[70:71], v[146:147]
	v_mov_b32_e32 v130, v76
	v_pk_add_f32 v[70:71], v[70:71], v[140:141]
	v_mov_b32_e32 v131, v79
	v_pk_add_f32 v[70:71], v[70:71], v[170:171]
	v_pk_add_f32 v[180:181], v[136:137], v[62:63] neg_lo:[0,1] neg_hi:[0,1]
	v_pk_add_f32 v[70:71], v[70:71], v[142:143]
	v_mov_b32_e32 v62, v79
	v_pk_add_f32 v[70:71], v[70:71], v[172:173]
	v_mov_b32_e32 v175, v148
	;; [unrolled: 2-line block ×3, first 2 shown]
	v_pk_add_f32 v[70:71], v[70:71], v[154:155]
	v_pk_add_f32 v[160:161], v[138:139], v[62:63] neg_lo:[0,1] neg_hi:[0,1]
	v_pk_add_f32 v[70:71], v[70:71], v[130:131]
	v_mov_b32_e32 v62, v178
	v_pk_add_f32 v[70:71], v[70:71], v[80:81]
	v_pk_mul_f32 v[72:73], v[174:175], s[6:7]
	v_mov_b32_e32 v69, v138
	v_pk_add_f32 v[152:153], v[170:171], v[74:75]
	v_pk_add_f32 v[138:139], v[170:171], v[74:75] neg_lo:[0,1] neg_hi:[0,1]
	v_pk_add_f32 v[146:147], v[70:71], v[82:83]
	v_pk_fma_f32 v[74:75], v[178:179], s[30:31], v[72:73] neg_lo:[1,0,0] neg_hi:[1,0,0]
	v_pk_fma_f32 v[70:71], v[62:63], s[30:31], v[72:73]
	v_mov_b32_e32 v177, v134
	v_mov_b32_e32 v75, v71
	;; [unrolled: 1-line block ×3, first 2 shown]
	v_pk_mul_f32 v[76:77], v[176:177], s[44:45]
	v_pk_add_f32 v[68:69], v[68:69], v[78:79]
	v_pk_add_f32 v[78:79], v[60:61], v[74:75]
	v_pk_fma_f32 v[80:81], v[180:181], s[16:17], v[76:77] neg_lo:[1,0,0] neg_hi:[1,0,0]
	v_pk_fma_f32 v[74:75], v[66:67], s[16:17], v[76:77]
	v_mov_b32_e32 v157, v132
	v_mov_b32_e32 v81, v75
	v_pk_add_f32 v[82:83], v[80:81], v[78:79]
	v_mov_b32_e32 v68, v160
	v_pk_mul_f32 v[80:81], v[156:157], s[28:29]
	s_mov_b32 s6, 0xbf6f5d39
	v_pk_fma_f32 v[130:131], v[160:161], s[22:23], v[80:81] neg_lo:[1,0,0] neg_hi:[1,0,0]
	v_pk_fma_f32 v[78:79], v[68:69], s[22:23], v[80:81]
	v_pk_add_f32 v[158:159], v[140:141], v[154:155]
	v_pk_add_f32 v[136:137], v[140:141], v[154:155] neg_lo:[0,1] neg_hi:[0,1]
	v_mov_b32_e32 v131, v79
	s_mov_b32 s7, 0xbeb58ec6
	v_pk_add_f32 v[134:135], v[130:131], v[82:83]
	v_mov_b32_e32 v83, v159
	v_mov_b32_e32 v159, v136
	s_mov_b32 s40, s7
	s_mov_b32 s41, s6
	v_mov_b32_e32 v82, v137
	v_pk_mul_f32 v[132:133], v[158:159], s[40:41]
	v_pk_add_f32 v[150:151], v[142:143], v[172:173]
	v_pk_fma_f32 v[136:137], v[82:83], s[6:7], v[132:133] neg_lo:[1,0,0] neg_hi:[1,0,0]
	v_pk_fma_f32 v[130:131], v[82:83], s[6:7], v[132:133]
	v_pk_add_f32 v[164:165], v[142:143], v[172:173] neg_lo:[0,1] neg_hi:[0,1]
	v_mov_b32_e32 v137, v131
	v_pk_add_f32 v[140:141], v[136:137], v[134:135]
	v_mov_b32_e32 v135, v153
	v_mov_b32_e32 v153, v138
	;; [unrolled: 1-line block ×3, first 2 shown]
	v_pk_mul_f32 v[138:139], v[152:153], s[42:43]
	v_pk_mul_f32 v[162:163], v[174:175], s[44:45]
	v_pk_fma_f32 v[142:143], v[134:135], s[14:15], v[138:139] neg_lo:[1,0,0] neg_hi:[1,0,0]
	v_pk_fma_f32 v[136:137], v[134:135], s[14:15], v[138:139]
	v_pk_fma_f32 v[188:189], v[178:179], s[16:17], v[162:163] neg_lo:[1,0,0] neg_hi:[1,0,0]
	v_mov_b32_e32 v143, v137
	v_pk_add_f32 v[148:149], v[142:143], v[140:141]
	v_mov_b32_e32 v141, v151
	v_mov_b32_e32 v151, v164
	v_mov_b32_e32 v140, v165
	v_pk_mul_f32 v[144:145], v[150:151], s[38:39]
	v_pk_mul_f32 v[166:167], v[176:177], s[40:41]
	v_pk_fma_f32 v[154:155], v[140:141], s[18:19], v[144:145] neg_lo:[1,0,0] neg_hi:[1,0,0]
	v_pk_fma_f32 v[142:143], v[140:141], s[18:19], v[144:145]
	v_pk_fma_f32 v[190:191], v[180:181], s[6:7], v[166:167] neg_lo:[1,0,0] neg_hi:[1,0,0]
	v_mov_b32_e32 v155, v143
	v_pk_add_f32 v[148:149], v[154:155], v[148:149]
	ds_write2_b64 v84, v[146:147], v[148:149] offset1:156
	v_pk_fma_f32 v[146:147], v[62:63], s[16:17], v[162:163]
	v_pk_fma_f32 v[148:149], v[66:67], s[6:7], v[166:167]
	v_mov_b32_e32 v189, v147
	v_pk_mul_f32 v[168:169], v[156:157], s[38:39]
	v_mov_b32_e32 v191, v149
	v_pk_fma_f32 v[192:193], v[160:161], s[18:19], v[168:169] neg_lo:[1,0,0] neg_hi:[1,0,0]
	v_pk_fma_f32 v[154:155], v[68:69], s[18:19], v[168:169]
	v_pk_mul_f32 v[172:173], v[158:159], s[36:37]
	v_pk_add_f32 v[188:189], v[60:61], v[188:189]
	v_mov_b32_e32 v193, v155
	v_pk_fma_f32 v[194:195], v[82:83], s[26:27], v[172:173] neg_lo:[1,0,0] neg_hi:[1,0,0]
	v_pk_fma_f32 v[164:165], v[82:83], s[26:27], v[172:173]
	v_pk_mul_f32 v[182:183], v[152:153], s[46:47]
	v_pk_add_f32 v[188:189], v[190:191], v[188:189]
	;; [unrolled: 5-line block ×3, first 2 shown]
	v_mov_b32_e32 v197, v171
	v_pk_fma_f32 v[198:199], v[140:141], s[24:25], v[186:187] neg_lo:[1,0,0] neg_hi:[1,0,0]
	v_pk_fma_f32 v[184:185], v[140:141], s[24:25], v[186:187]
	v_pk_add_f32 v[188:189], v[194:195], v[188:189]
	v_mov_b32_e32 v199, v185
	v_pk_add_f32 v[188:189], v[196:197], v[188:189]
	v_pk_mul_f32 v[194:195], v[174:175], s[28:29]
	v_pk_add_f32 v[226:227], v[198:199], v[188:189]
	v_pk_fma_f32 v[228:229], v[178:179], s[22:23], v[194:195] neg_lo:[1,0,0] neg_hi:[1,0,0]
	v_pk_fma_f32 v[188:189], v[62:63], s[22:23], v[194:195]
	v_pk_mul_f32 v[198:199], v[176:177], s[38:39]
	s_mov_b32 s50, s7
	v_mov_b32_e32 v229, v189
	v_pk_fma_f32 v[230:231], v[180:181], s[18:19], v[198:199] neg_lo:[1,0,0] neg_hi:[1,0,0]
	v_pk_fma_f32 v[190:191], v[66:67], s[18:19], v[198:199]
	s_mov_b32 s35, s7
	v_pk_mul_f32 v[202:203], v[156:157], s[50:51]
	v_mov_b32_e32 v231, v191
	v_pk_fma_f32 v[232:233], v[160:161], s[34:35], v[202:203] neg_lo:[1,0,0] neg_hi:[1,0,0]
	v_pk_fma_f32 v[192:193], v[68:69], s[34:35], v[202:203]
	v_pk_mul_f32 v[206:207], v[158:159], s[48:49]
	v_pk_add_f32 v[228:229], v[60:61], v[228:229]
	v_mov_b32_e32 v233, v193
	v_pk_fma_f32 v[234:235], v[82:83], s[24:25], v[206:207] neg_lo:[1,0,0] neg_hi:[1,0,0]
	v_pk_fma_f32 v[196:197], v[82:83], s[24:25], v[206:207]
	v_pk_mul_f32 v[208:209], v[152:153], s[44:45]
	v_pk_add_f32 v[228:229], v[230:231], v[228:229]
	;; [unrolled: 5-line block ×3, first 2 shown]
	v_mov_b32_e32 v237, v201
	v_pk_fma_f32 v[238:239], v[140:141], s[14:15], v[210:211] neg_lo:[1,0,0] neg_hi:[1,0,0]
	v_pk_fma_f32 v[204:205], v[140:141], s[14:15], v[210:211]
	v_pk_add_f32 v[228:229], v[234:235], v[228:229]
	v_mov_b32_e32 v239, v205
	v_pk_add_f32 v[228:229], v[236:237], v[228:229]
	v_pk_mul_f32 v[232:233], v[176:177], s[36:37]
	v_pk_add_f32 v[228:229], v[238:239], v[228:229]
	ds_write2_b64 v221, v[226:227], v[228:229] offset0:56 offset1:212
	v_pk_mul_f32 v[226:227], v[174:175], s[40:41]
	v_pk_fma_f32 v[234:235], v[180:181], s[26:27], v[232:233] neg_lo:[1,0,0] neg_hi:[1,0,0]
	v_pk_fma_f32 v[228:229], v[178:179], s[6:7], v[226:227] neg_lo:[1,0,0] neg_hi:[1,0,0]
	v_pk_fma_f32 v[230:231], v[62:63], s[6:7], v[226:227]
	v_pk_fma_f32 v[236:237], v[66:67], s[26:27], v[232:233]
	v_mov_b32_e32 v229, v231
	v_mov_b32_e32 v235, v237
	v_pk_mul_f32 v[238:239], v[156:157], s[48:49]
	v_pk_add_f32 v[228:229], v[60:61], v[228:229]
	v_pk_fma_f32 v[240:241], v[68:69], s[24:25], v[238:239]
	v_pk_add_f32 v[228:229], v[234:235], v[228:229]
	v_pk_fma_f32 v[234:235], v[160:161], s[24:25], v[238:239] neg_lo:[1,0,0] neg_hi:[1,0,0]
	s_mov_b32 s36, 0x3e750f2a
	v_mov_b32_e32 v235, v241
	v_pk_add_f32 v[228:229], v[234:235], v[228:229]
	v_pk_mul_f32 v[234:235], v[158:159], s[28:29]
	s_mov_b32 s50, s19
	v_pk_fma_f32 v[242:243], v[82:83], s[22:23], v[234:235] neg_lo:[1,0,0] neg_hi:[1,0,0]
	v_pk_fma_f32 v[244:245], v[82:83], s[22:23], v[234:235]
	s_mov_b32 s51, s36
	v_mov_b32_e32 v243, v245
	v_pk_add_f32 v[228:229], v[242:243], v[228:229]
	s_mov_b32 s37, s19
	v_pk_mul_f32 v[242:243], v[152:153], s[50:51]
	s_mov_b32 s28, 0x3f52af12
	v_pk_fma_f32 v[246:247], v[134:135], s[36:37], v[242:243] neg_lo:[1,0,0] neg_hi:[1,0,0]
	v_pk_fma_f32 v[248:249], v[134:135], s[36:37], v[242:243]
	s_mov_b32 s53, s28
	v_mov_b32_e32 v247, v249
	v_pk_add_f32 v[228:229], v[246:247], v[228:229]
	s_mov_b32 s29, s17
	v_pk_mul_f32 v[246:247], v[150:151], s[52:53]
	v_pk_mul_f32 v[214:215], v[176:177], s[46:47]
	v_pk_fma_f32 v[250:251], v[140:141], s[28:29], v[246:247] neg_lo:[1,0,0] neg_hi:[1,0,0]
	v_pk_fma_f32 v[252:253], v[140:141], s[28:29], v[246:247]
	v_pk_fma_f32 v[216:217], v[180:181], s[20:21], v[214:215] neg_lo:[1,0,0] neg_hi:[1,0,0]
	v_mov_b32_e32 v251, v253
	v_pk_add_f32 v[228:229], v[250:251], v[228:229]
	v_pk_mul_f32 v[250:251], v[174:175], s[42:43]
	v_pk_fma_f32 v[218:219], v[66:67], s[20:21], v[214:215]
	v_pk_fma_f32 v[254:255], v[178:179], s[14:15], v[250:251] neg_lo:[1,0,0] neg_hi:[1,0,0]
	v_pk_fma_f32 v[212:213], v[62:63], s[14:15], v[250:251]
	v_mov_b32_e32 v217, v219
	v_mov_b32_e32 v255, v213
	v_pk_add_f32 v[254:255], v[60:61], v[254:255]
	v_pk_mul_f32 v[176:177], v[176:177], s[48:49]
	v_pk_add_f32 v[216:217], v[216:217], v[254:255]
	v_pk_mul_f32 v[254:255], v[156:157], s[44:45]
	v_pk_mul_f32 v[156:157], v[156:157], s[42:43]
	v_pk_fma_f32 v[86:87], v[160:161], s[16:17], v[254:255] neg_lo:[1,0,0] neg_hi:[1,0,0]
	v_pk_fma_f32 v[90:91], v[68:69], s[16:17], v[254:255]
	v_pk_fma_f32 v[160:161], v[160:161], s[14:15], v[156:157] neg_lo:[1,0,0] neg_hi:[1,0,0]
	v_mov_b32_e32 v87, v91
	v_pk_add_f32 v[86:87], v[86:87], v[216:217]
	v_pk_mul_f32 v[216:217], v[158:159], s[50:51]
	v_pk_mul_f32 v[158:159], v[158:159], s[52:53]
	v_pk_fma_f32 v[92:93], v[82:83], s[36:37], v[216:217] neg_lo:[1,0,0] neg_hi:[1,0,0]
	v_pk_fma_f32 v[94:95], v[82:83], s[36:37], v[216:217]
	v_mov_b32_e32 v85, v65
	v_mov_b32_e32 v93, v95
	v_pk_add_f32 v[86:87], v[92:93], v[86:87]
	v_pk_mul_f32 v[92:93], v[152:153], s[48:49]
	v_pk_mul_f32 v[152:153], v[152:153], s[40:41]
	v_pk_fma_f32 v[96:97], v[134:135], s[24:25], v[92:93] neg_lo:[1,0,0] neg_hi:[1,0,0]
	v_pk_fma_f32 v[100:101], v[134:135], s[24:25], v[92:93]
	v_pk_fma_f32 v[106:107], v[134:135], s[6:7], v[152:153]
	v_mov_b32_e32 v97, v101
	v_pk_add_f32 v[86:87], v[96:97], v[86:87]
	v_pk_mul_f32 v[96:97], v[150:151], s[40:41]
	v_pk_mul_f32 v[150:151], v[150:151], s[46:47]
	v_pk_fma_f32 v[102:103], v[140:141], s[6:7], v[96:97] neg_lo:[1,0,0] neg_hi:[1,0,0]
	v_pk_fma_f32 v[104:105], v[140:141], s[6:7], v[96:97]
	v_pk_fma_f32 v[108:109], v[140:141], s[20:21], v[150:151]
	v_mov_b32_e32 v103, v105
	v_pk_add_f32 v[86:87], v[102:103], v[86:87]
	ds_write2_b64 v64, v[228:229], v[86:87] offset0:48 offset1:204
	v_pk_mul_f32 v[86:87], v[174:175], s[38:39]
	v_pk_fma_f32 v[228:229], v[82:83], s[28:29], v[158:159]
	v_pk_fma_f32 v[102:103], v[178:179], s[18:19], v[86:87] neg_lo:[1,0,0] neg_hi:[1,0,0]
	v_pk_fma_f32 v[174:175], v[62:63], s[18:19], v[86:87]
	v_pk_fma_f32 v[178:179], v[180:181], s[24:25], v[176:177] neg_lo:[1,0,0] neg_hi:[1,0,0]
	v_mov_b32_e32 v103, v175
	v_pk_fma_f32 v[180:181], v[66:67], s[24:25], v[176:177]
	v_pk_add_f32 v[102:103], v[60:61], v[102:103]
	v_mov_b32_e32 v179, v181
	v_pk_add_f32 v[102:103], v[178:179], v[102:103]
	v_pk_fma_f32 v[178:179], v[68:69], s[14:15], v[156:157]
	v_pk_fma_f32 v[86:87], v[62:63], s[18:19], v[86:87] neg_lo:[0,0,1] neg_hi:[0,0,1]
	v_mov_b32_e32 v161, v179
	v_pk_add_f32 v[102:103], v[160:161], v[102:103]
	v_pk_fma_f32 v[160:161], v[82:83], s[28:29], v[158:159] neg_lo:[1,0,0] neg_hi:[1,0,0]
	v_mov_b32_e32 v175, v87
	v_pk_fma_f32 v[86:87], v[66:67], s[24:25], v[176:177] neg_lo:[0,0,1] neg_hi:[0,0,1]
	v_mov_b32_e32 v161, v229
	v_mov_b32_e32 v181, v87
	v_pk_fma_f32 v[86:87], v[68:69], s[14:15], v[156:157] neg_lo:[0,0,1] neg_hi:[0,0,1]
	v_pk_add_f32 v[102:103], v[160:161], v[102:103]
	v_pk_fma_f32 v[160:161], v[134:135], s[6:7], v[152:153] neg_lo:[1,0,0] neg_hi:[1,0,0]
	v_mov_b32_e32 v179, v87
	v_pk_fma_f32 v[86:87], v[82:83], s[28:29], v[158:159] neg_lo:[0,0,1] neg_hi:[0,0,1]
	v_mov_b32_e32 v161, v107
	v_mov_b32_e32 v229, v87
	v_pk_fma_f32 v[86:87], v[134:135], s[6:7], v[152:153] neg_lo:[0,0,1] neg_hi:[0,0,1]
	v_pk_add_f32 v[102:103], v[160:161], v[102:103]
	v_pk_fma_f32 v[160:161], v[140:141], s[20:21], v[150:151] neg_lo:[1,0,0] neg_hi:[1,0,0]
	v_mov_b32_e32 v107, v87
	v_pk_fma_f32 v[86:87], v[140:141], s[20:21], v[150:151] neg_lo:[0,0,1] neg_hi:[0,0,1]
	v_mov_b32_e32 v161, v109
	v_mov_b32_e32 v109, v87
	v_pk_add_f32 v[86:87], v[60:61], v[174:175]
	v_pk_add_f32 v[102:103], v[160:161], v[102:103]
	;; [unrolled: 1-line block ×3, first 2 shown]
	s_mov_b32 s40, s31
	v_pk_add_f32 v[86:87], v[178:179], v[86:87]
	s_mov_b32 s42, s7
	v_pk_add_f32 v[86:87], v[228:229], v[86:87]
	s_mov_b32 s44, s15
	v_pk_add_f32 v[86:87], v[106:107], v[86:87]
	s_nop 0
	v_pk_add_f32 v[86:87], v[108:109], v[86:87]
	ds_write2_b64 v222, v[102:103], v[86:87] offset0:40 offset1:196
	v_pk_fma_f32 v[86:87], v[62:63], s[14:15], v[250:251] neg_lo:[0,0,1] neg_hi:[0,0,1]
	s_nop 0
	v_mov_b32_e32 v213, v87
	v_pk_fma_f32 v[86:87], v[66:67], s[20:21], v[214:215] neg_lo:[0,0,1] neg_hi:[0,0,1]
	s_nop 0
	v_mov_b32_e32 v219, v87
	;; [unrolled: 3-line block ×4, first 2 shown]
	v_pk_fma_f32 v[86:87], v[134:135], s[24:25], v[92:93] neg_lo:[0,0,1] neg_hi:[0,0,1]
	v_pk_fma_f32 v[92:93], v[62:63], s[6:7], v[226:227] neg_lo:[0,0,1] neg_hi:[0,0,1]
	v_mov_b32_e32 v101, v87
	v_mov_b32_e32 v231, v93
	v_pk_fma_f32 v[92:93], v[66:67], s[26:27], v[232:233] neg_lo:[0,0,1] neg_hi:[0,0,1]
	v_pk_fma_f32 v[86:87], v[140:141], s[6:7], v[96:97] neg_lo:[0,0,1] neg_hi:[0,0,1]
	v_mov_b32_e32 v237, v93
	v_pk_fma_f32 v[92:93], v[68:69], s[24:25], v[238:239] neg_lo:[0,0,1] neg_hi:[0,0,1]
	v_mov_b32_e32 v105, v87
	v_mov_b32_e32 v241, v93
	v_pk_fma_f32 v[92:93], v[82:83], s[22:23], v[234:235] neg_lo:[0,0,1] neg_hi:[0,0,1]
	v_pk_add_f32 v[86:87], v[60:61], v[212:213]
	v_mov_b32_e32 v245, v93
	v_pk_fma_f32 v[92:93], v[134:135], s[36:37], v[242:243] neg_lo:[0,0,1] neg_hi:[0,0,1]
	v_pk_add_f32 v[86:87], v[218:219], v[86:87]
	;; [unrolled: 3-line block ×3, first 2 shown]
	v_mov_b32_e32 v253, v93
	v_pk_add_f32 v[92:93], v[60:61], v[230:231]
	v_pk_add_f32 v[86:87], v[94:95], v[86:87]
	;; [unrolled: 1-line block ×7, first 2 shown]
	v_lshl_add_u64 v[90:91], s[4:5], 0, v[84:85]
	v_pk_add_f32 v[92:93], v[248:249], v[92:93]
	s_movk_i32 s4, 0x3000
	v_pk_add_f32 v[92:93], v[252:253], v[92:93]
	ds_write2_b64 v223, v[86:87], v[92:93] offset0:96 offset1:252
	v_pk_fma_f32 v[86:87], v[62:63], s[22:23], v[194:195] neg_lo:[0,0,1] neg_hi:[0,0,1]
	v_pk_fma_f32 v[92:93], v[62:63], s[16:17], v[162:163] neg_lo:[0,0,1] neg_hi:[0,0,1]
	v_mov_b32_e32 v189, v87
	v_pk_fma_f32 v[86:87], v[66:67], s[18:19], v[198:199] neg_lo:[0,0,1] neg_hi:[0,0,1]
	v_mov_b32_e32 v147, v93
	;; [unrolled: 2-line block ×8, first 2 shown]
	v_pk_fma_f32 v[92:93], v[134:135], s[20:21], v[182:183] neg_lo:[0,0,1] neg_hi:[0,0,1]
	v_pk_fma_f32 v[62:63], v[62:63], s[30:31], v[72:73] neg_lo:[0,0,1] neg_hi:[0,0,1]
	v_mov_b32_e32 v201, v87
	v_pk_fma_f32 v[86:87], v[140:141], s[14:15], v[210:211] neg_lo:[0,0,1] neg_hi:[0,0,1]
	v_mov_b32_e32 v171, v93
	;; [unrolled: 2-line block ×4, first 2 shown]
	v_pk_add_f32 v[86:87], v[60:61], v[188:189]
	v_mov_b32_e32 v185, v93
	v_pk_add_f32 v[92:93], v[60:61], v[146:147]
	v_pk_add_f32 v[60:61], v[60:61], v[70:71]
	v_mov_b32_e32 v75, v63
	v_pk_fma_f32 v[62:63], v[68:69], s[22:23], v[80:81] neg_lo:[0,0,1] neg_hi:[0,0,1]
	v_pk_add_f32 v[60:61], v[74:75], v[60:61]
	v_mov_b32_e32 v79, v63
	v_pk_fma_f32 v[62:63], v[82:83], s[6:7], v[132:133] neg_lo:[0,0,1] neg_hi:[0,0,1]
	;; [unrolled: 3-line block ×3, first 2 shown]
	v_pk_add_f32 v[86:87], v[190:191], v[86:87]
	v_pk_add_f32 v[92:93], v[148:149], v[92:93]
	;; [unrolled: 1-line block ×3, first 2 shown]
	v_mov_b32_e32 v137, v63
	v_pk_fma_f32 v[62:63], v[140:141], s[18:19], v[144:145] neg_lo:[0,0,1] neg_hi:[0,0,1]
	v_pk_add_f32 v[86:87], v[192:193], v[86:87]
	v_pk_add_f32 v[92:93], v[154:155], v[92:93]
	;; [unrolled: 1-line block ×3, first 2 shown]
	v_mov_b32_e32 v143, v63
	v_pk_add_f32 v[86:87], v[196:197], v[86:87]
	v_pk_add_f32 v[92:93], v[164:165], v[92:93]
	;; [unrolled: 1-line block ×5, first 2 shown]
	ds_write_b64 v84, v[60:61] offset:14976
	v_add_co_u32_e64 v60, s[4:5], s4, v90
	v_pk_add_f32 v[86:87], v[204:205], v[86:87]
	v_pk_add_f32 v[92:93], v[184:185], v[92:93]
	v_addc_co_u32_e64 v61, s[4:5], 0, v91, s[4:5]
	ds_write2_b64 v224, v[86:87], v[92:93] offset0:24 offset1:180
	s_waitcnt lgkmcnt(0)
	s_barrier
	global_load_dwordx2 v[66:67], v[60:61], off offset:3936
	s_mov_b64 s[4:5], 0x3f60
	v_lshl_add_u64 v[60:61], v[90:91], 0, s[4:5]
	global_load_dwordx2 v[68:69], v[60:61], off offset:1248
	global_load_dwordx2 v[70:71], v[60:61], off offset:2496
	global_load_dwordx2 v[72:73], v[60:61], off offset:3744
	s_movk_i32 s4, 0x5000
	v_add_co_u32_e64 v60, s[4:5], s4, v90
	s_nop 1
	v_addc_co_u32_e64 v61, s[4:5], 0, v91, s[4:5]
	global_load_dwordx2 v[74:75], v[60:61], off offset:736
	global_load_dwordx2 v[76:77], v[60:61], off offset:1984
	global_load_dwordx2 v[78:79], v[60:61], off offset:3232
	s_movk_i32 s4, 0x6000
	v_add_co_u32_e64 v60, s[4:5], s4, v90
	s_nop 1
	v_addc_co_u32_e64 v61, s[4:5], 0, v91, s[4:5]
	global_load_dwordx2 v[80:81], v[60:61], off offset:384
	global_load_dwordx2 v[82:83], v[60:61], off offset:1632
	global_load_dwordx2 v[86:87], v[60:61], off offset:2880
	s_movk_i32 s4, 0x7000
	v_add_co_u32_e64 v60, s[4:5], s4, v90
	s_nop 1
	v_addc_co_u32_e64 v61, s[4:5], 0, v91, s[4:5]
	global_load_dwordx2 v[90:91], v[60:61], off offset:32
	global_load_dwordx2 v[92:93], v[60:61], off offset:1280
	;; [unrolled: 1-line block ×3, first 2 shown]
	ds_read2_b64 v[60:63], v84 offset1:156
	s_mov_b32 s4, s23
	s_waitcnt vmcnt(12) lgkmcnt(0)
	v_mul_f32_e32 v65, v61, v67
	v_mul_f32_e32 v97, v60, v67
	v_fma_f32 v96, v60, v66, -v65
	v_fmac_f32_e32 v97, v61, v66
	s_waitcnt vmcnt(11)
	v_mul_f32_e32 v60, v63, v69
	v_mul_f32_e32 v61, v62, v69
	v_fma_f32 v60, v62, v68, -v60
	v_fmac_f32_e32 v61, v63, v68
	ds_write2_b64 v84, v[96:97], v[60:61] offset1:156
	ds_read2_b64 v[60:63], v221 offset0:56 offset1:212
	ds_read2_b64 v[66:69], v64 offset0:48 offset1:204
	s_waitcnt vmcnt(10) lgkmcnt(1)
	v_mul_f32_e32 v65, v61, v71
	v_mul_f32_e32 v97, v60, v71
	v_fma_f32 v96, v60, v70, -v65
	v_fmac_f32_e32 v97, v61, v70
	s_waitcnt vmcnt(9)
	v_mul_f32_e32 v60, v63, v73
	v_mul_f32_e32 v61, v62, v73
	v_fma_f32 v60, v62, v72, -v60
	v_fmac_f32_e32 v61, v63, v72
	ds_write2_b64 v221, v[96:97], v[60:61] offset0:56 offset1:212
	s_waitcnt vmcnt(8) lgkmcnt(1)
	v_mul_f32_e32 v60, v67, v75
	v_fma_f32 v70, v66, v74, -v60
	v_mul_f32_e32 v71, v66, v75
	ds_read2_b64 v[60:63], v222 offset0:40 offset1:196
	v_fmac_f32_e32 v71, v67, v74
	s_waitcnt vmcnt(7)
	v_mul_f32_e32 v65, v69, v77
	v_mul_f32_e32 v67, v68, v77
	v_fma_f32 v66, v68, v76, -v65
	v_fmac_f32_e32 v67, v69, v76
	ds_write2_b64 v64, v[70:71], v[66:67] offset0:48 offset1:204
	ds_read2_b64 v[66:69], v223 offset0:96 offset1:252
	s_waitcnt vmcnt(6) lgkmcnt(2)
	v_mul_f32_e32 v65, v61, v79
	v_mul_f32_e32 v71, v60, v79
	v_fma_f32 v70, v60, v78, -v65
	v_fmac_f32_e32 v71, v61, v78
	s_waitcnt vmcnt(5)
	v_mul_f32_e32 v60, v63, v81
	v_mul_f32_e32 v61, v62, v81
	v_fma_f32 v60, v62, v80, -v60
	v_fmac_f32_e32 v61, v63, v80
	ds_write2_b64 v222, v[70:71], v[60:61] offset0:40 offset1:196
	s_waitcnt vmcnt(4) lgkmcnt(1)
	v_mul_f32_e32 v60, v67, v83
	v_fma_f32 v70, v66, v82, -v60
	ds_read2_b64 v[60:63], v224 offset0:24 offset1:180
	v_mul_f32_e32 v71, v66, v83
	v_fmac_f32_e32 v71, v67, v82
	s_waitcnt vmcnt(3)
	v_mul_f32_e32 v65, v69, v87
	v_mul_f32_e32 v67, v68, v87
	v_fma_f32 v66, v68, v86, -v65
	v_fmac_f32_e32 v67, v69, v86
	ds_write2_b64 v223, v[70:71], v[66:67] offset0:96 offset1:252
	s_waitcnt vmcnt(2) lgkmcnt(1)
	v_mul_f32_e32 v65, v61, v91
	v_mul_f32_e32 v67, v60, v91
	v_fma_f32 v66, v60, v90, -v65
	v_fmac_f32_e32 v67, v61, v90
	ds_read_b64 v[60:61], v84 offset:14976
	s_waitcnt vmcnt(1)
	v_mul_f32_e32 v65, v63, v93
	v_mul_f32_e32 v69, v62, v93
	v_fma_f32 v68, v62, v92, -v65
	v_fmac_f32_e32 v69, v63, v92
	s_waitcnt vmcnt(0) lgkmcnt(0)
	v_mul_f32_e32 v62, v61, v95
	v_mul_f32_e32 v63, v60, v95
	v_fma_f32 v62, v60, v94, -v62
	v_fmac_f32_e32 v63, v61, v94
	ds_write2_b64 v224, v[66:67], v[68:69] offset0:24 offset1:180
	ds_write_b64 v84, v[62:63] offset:14976
	s_waitcnt lgkmcnt(0)
	s_barrier
	ds_read2_b64 v[66:69], v221 offset0:56 offset1:212
	ds_read2_b64 v[70:73], v64 offset0:48 offset1:204
	ds_read2_b64 v[60:63], v84 offset1:156
	ds_read2_b64 v[74:77], v222 offset0:40 offset1:196
	ds_read2_b64 v[78:81], v223 offset0:96 offset1:252
	;; [unrolled: 1-line block ×3, first 2 shown]
	ds_read_b64 v[64:65], v84 offset:14976
	s_waitcnt lgkmcnt(4)
	v_pk_add_f32 v[82:83], v[60:61], v[62:63]
	s_waitcnt lgkmcnt(3)
	v_pk_add_f32 v[156:157], v[76:77], v[74:75]
	v_pk_add_f32 v[82:83], v[82:83], v[66:67]
	s_waitcnt lgkmcnt(1)
	v_pk_add_f32 v[142:143], v[66:67], v[146:147] neg_lo:[0,1] neg_hi:[0,1]
	v_pk_add_f32 v[82:83], v[82:83], v[68:69]
	s_waitcnt lgkmcnt(0)
	v_pk_add_f32 v[136:137], v[62:63], v[64:65] neg_lo:[0,1] neg_hi:[0,1]
	v_pk_add_f32 v[82:83], v[82:83], v[70:71]
	v_pk_add_f32 v[134:135], v[64:65], v[62:63]
	v_pk_add_f32 v[82:83], v[82:83], v[72:73]
	v_pk_mul_f32 v[62:63], v[136:137], s[30:31] op_sel_hi:[1,0]
	v_pk_add_f32 v[82:83], v[82:83], v[74:75]
	v_pk_fma_f32 v[90:91], v[134:135], s[40:41], v[62:63] op_sel:[0,0,1] op_sel_hi:[1,0,0]
	v_pk_add_f32 v[82:83], v[82:83], v[76:77]
	v_pk_fma_f32 v[132:133], v[134:135], s[40:41], v[62:63] op_sel:[0,0,1] op_sel_hi:[1,0,0] neg_lo:[0,0,1] neg_hi:[0,0,1]
	v_pk_add_f32 v[82:83], v[82:83], v[78:79]
	v_pk_add_f32 v[138:139], v[146:147], v[66:67]
	;; [unrolled: 1-line block ×3, first 2 shown]
	s_mov_b32 s30, s17
	v_pk_add_f32 v[82:83], v[82:83], v[144:145]
	v_mov_b32_e32 v62, v90
	v_pk_add_f32 v[82:83], v[82:83], v[146:147]
	v_mov_b32_e32 v63, v133
	v_pk_add_f32 v[86:87], v[82:83], v[64:65]
	v_pk_mul_f32 v[64:65], v[142:143], s[16:17] op_sel_hi:[1,0]
	v_pk_add_f32 v[62:63], v[60:61], v[62:63]
	v_pk_fma_f32 v[92:93], v[138:139], s[30:31], v[64:65] op_sel:[0,0,1] op_sel_hi:[1,0,0]
	v_pk_fma_f32 v[94:95], v[138:139], s[30:31], v[64:65] op_sel:[0,0,1] op_sel_hi:[1,0,0] neg_lo:[0,0,1] neg_hi:[0,0,1]
	v_mov_b32_e32 v64, v92
	v_mov_b32_e32 v65, v95
	v_pk_add_f32 v[140:141], v[144:145], v[68:69]
	v_pk_add_f32 v[144:145], v[68:69], v[144:145] neg_lo:[0,1] neg_hi:[0,1]
	v_pk_add_f32 v[62:63], v[64:65], v[62:63]
	v_pk_mul_f32 v[64:65], v[144:145], s[22:23] op_sel_hi:[1,0]
	v_pk_mul_f32 v[68:69], v[136:137], s[16:17] op_sel_hi:[1,0]
	v_pk_fma_f32 v[96:97], v[140:141], s[4:5], v[64:65] op_sel:[0,0,1] op_sel_hi:[1,0,0]
	v_pk_fma_f32 v[100:101], v[140:141], s[4:5], v[64:65] op_sel:[0,0,1] op_sel_hi:[1,0,0] neg_lo:[0,0,1] neg_hi:[0,0,1]
	v_mov_b32_e32 v64, v96
	v_mov_b32_e32 v65, v101
	v_pk_add_f32 v[104:105], v[70:71], v[80:81] neg_lo:[0,1] neg_hi:[0,1]
	v_pk_fma_f32 v[66:67], v[134:135], s[30:31], v[68:69] op_sel:[0,0,1] op_sel_hi:[1,0,0]
	v_pk_fma_f32 v[68:69], v[134:135], s[30:31], v[68:69] op_sel:[0,0,1] op_sel_hi:[1,0,0] neg_lo:[0,0,1] neg_hi:[0,0,1]
	v_pk_add_f32 v[62:63], v[64:65], v[62:63]
	v_pk_add_f32 v[102:103], v[80:81], v[70:71]
	v_pk_mul_f32 v[64:65], v[104:105], s[6:7] op_sel_hi:[1,0]
	v_pk_add_f32 v[146:147], v[78:79], v[72:73]
	v_pk_add_f32 v[148:149], v[72:73], v[78:79] neg_lo:[0,1] neg_hi:[0,1]
	v_mov_b32_e32 v70, v66
	v_mov_b32_e32 v71, v69
	v_pk_mul_f32 v[72:73], v[142:143], s[6:7] op_sel_hi:[1,0]
	v_pk_fma_f32 v[106:107], v[102:103], s[42:43], v[64:65] op_sel:[0,0,1] op_sel_hi:[1,0,0]
	v_pk_fma_f32 v[108:109], v[102:103], s[42:43], v[64:65] op_sel:[0,0,1] op_sel_hi:[1,0,0] neg_lo:[0,0,1] neg_hi:[0,0,1]
	v_pk_add_f32 v[158:159], v[74:75], v[76:77] neg_lo:[0,1] neg_hi:[0,1]
	v_pk_add_f32 v[74:75], v[60:61], v[70:71]
	v_pk_fma_f32 v[70:71], v[138:139], s[42:43], v[72:73] op_sel:[0,0,1] op_sel_hi:[1,0,0]
	v_pk_fma_f32 v[72:73], v[138:139], s[42:43], v[72:73] op_sel:[0,0,1] op_sel_hi:[1,0,0] neg_lo:[0,0,1] neg_hi:[0,0,1]
	v_mov_b32_e32 v64, v106
	v_mov_b32_e32 v65, v109
	;; [unrolled: 1-line block ×4, first 2 shown]
	v_pk_add_f32 v[62:63], v[64:65], v[62:63]
	v_pk_mul_f32 v[64:65], v[148:149], s[14:15] op_sel_hi:[1,0]
	v_pk_add_f32 v[78:79], v[76:77], v[74:75]
	v_pk_mul_f32 v[76:77], v[144:145], s[18:19] op_sel_hi:[1,0]
	v_pk_fma_f32 v[150:151], v[146:147], s[44:45], v[64:65] op_sel:[0,0,1] op_sel_hi:[1,0,0]
	v_pk_fma_f32 v[152:153], v[146:147], s[44:45], v[64:65] op_sel:[0,0,1] op_sel_hi:[1,0,0] neg_lo:[0,0,1] neg_hi:[0,0,1]
	v_pk_fma_f32 v[74:75], v[140:141], s[38:39], v[76:77] op_sel:[0,0,1] op_sel_hi:[1,0,0]
	v_pk_fma_f32 v[76:77], v[140:141], s[38:39], v[76:77] op_sel:[0,0,1] op_sel_hi:[1,0,0] neg_lo:[0,0,1] neg_hi:[0,0,1]
	v_mov_b32_e32 v64, v150
	v_mov_b32_e32 v65, v153
	;; [unrolled: 1-line block ×4, first 2 shown]
	v_pk_add_f32 v[154:155], v[64:65], v[62:63]
	v_mov_b32_e32 v62, v156
	v_mov_b32_e32 v63, v158
	v_pk_add_f32 v[82:83], v[80:81], v[78:79]
	v_pk_mul_f32 v[80:81], v[104:105], s[26:27] op_sel_hi:[1,0]
	v_mov_b32_e32 v160, v159
	v_mov_b32_e32 v161, v157
	v_pk_mul_f32 v[162:163], v[62:63], s[38:39]
	v_pk_fma_f32 v[78:79], v[102:103], s[44:45], v[80:81] op_sel:[0,0,1] op_sel_hi:[1,0,0]
	v_pk_fma_f32 v[80:81], v[102:103], s[44:45], v[80:81] op_sel:[0,0,1] op_sel_hi:[1,0,0] neg_lo:[0,0,1] neg_hi:[0,0,1]
	v_pk_fma_f32 v[164:165], v[160:161], s[18:19], v[162:163] neg_lo:[1,0,0] neg_hi:[1,0,0]
	v_pk_fma_f32 v[166:167], v[160:161], s[18:19], v[162:163]
	v_mov_b32_e32 v130, v78
	v_mov_b32_e32 v131, v81
	v_pk_fma_f32 v[160:161], v[160:161], s[18:19], v[162:163] neg_lo:[0,0,1] neg_hi:[0,0,1]
	v_mov_b32_e32 v165, v167
	v_pk_add_f32 v[170:171], v[130:131], v[82:83]
	v_pk_mul_f32 v[130:131], v[148:149], s[20:21] op_sel_hi:[1,0]
	v_mov_b32_e32 v167, v161
	v_pk_mul_f32 v[62:63], v[158:159], s[24:25] op_sel_hi:[1,0]
	v_pk_fma_f32 v[82:83], v[146:147], s[4:5], v[130:131] op_sel:[0,0,1] op_sel_hi:[1,0,0]
	v_pk_fma_f32 v[130:131], v[146:147], s[4:5], v[130:131] op_sel:[0,0,1] op_sel_hi:[1,0,0] neg_lo:[0,0,1] neg_hi:[0,0,1]
	v_pk_add_f32 v[154:155], v[166:167], v[154:155]
	s_barrier
	v_pk_fma_f32 v[64:65], v[156:157], s[40:41], v[62:63] op_sel:[0,0,1] op_sel_hi:[1,0,0]
	v_pk_fma_f32 v[62:63], v[156:157], s[40:41], v[62:63] op_sel:[0,0,1] op_sel_hi:[1,0,0] neg_lo:[0,0,1] neg_hi:[0,0,1]
	v_mov_b32_e32 v172, v82
	v_mov_b32_e32 v173, v131
	ds_write2_b64 v99, v[86:87], v[154:155] offset1:1
	v_pk_mul_f32 v[86:87], v[136:137], s[22:23] op_sel_hi:[1,0]
	v_mov_b32_e32 v168, v64
	v_mov_b32_e32 v169, v63
	v_pk_add_f32 v[170:171], v[172:173], v[170:171]
	v_pk_fma_f32 v[154:155], v[134:135], s[4:5], v[86:87] op_sel:[0,0,1] op_sel_hi:[1,0,0]
	v_pk_fma_f32 v[86:87], v[134:135], s[4:5], v[86:87] op_sel:[0,0,1] op_sel_hi:[1,0,0] neg_lo:[0,0,1] neg_hi:[0,0,1]
	v_pk_mul_f32 v[166:167], v[142:143], s[18:19] op_sel_hi:[1,0]
	v_pk_add_f32 v[160:161], v[168:169], v[170:171]
	v_mov_b32_e32 v162, v154
	v_mov_b32_e32 v163, v87
	v_pk_fma_f32 v[168:169], v[138:139], s[38:39], v[166:167] op_sel:[0,0,1] op_sel_hi:[1,0,0]
	v_pk_fma_f32 v[166:167], v[138:139], s[38:39], v[166:167] op_sel:[0,0,1] op_sel_hi:[1,0,0] neg_lo:[0,0,1] neg_hi:[0,0,1]
	v_pk_add_f32 v[162:163], v[60:61], v[162:163]
	v_mov_b32_e32 v170, v168
	v_mov_b32_e32 v171, v167
	v_pk_add_f32 v[162:163], v[170:171], v[162:163]
	v_pk_mul_f32 v[170:171], v[144:145], s[34:35] op_sel_hi:[1,0]
	v_pk_mul_f32 v[188:189], v[142:143], s[26:27] op_sel_hi:[1,0]
	v_pk_fma_f32 v[172:173], v[140:141], s[42:43], v[170:171] op_sel:[0,0,1] op_sel_hi:[1,0,0]
	v_pk_fma_f32 v[170:171], v[140:141], s[42:43], v[170:171] op_sel:[0,0,1] op_sel_hi:[1,0,0] neg_lo:[0,0,1] neg_hi:[0,0,1]
	v_mov_b32_e32 v174, v172
	v_mov_b32_e32 v175, v171
	v_pk_add_f32 v[162:163], v[174:175], v[162:163]
	v_pk_mul_f32 v[174:175], v[104:105], s[24:25] op_sel_hi:[1,0]
	v_pk_fma_f32 v[190:191], v[138:139], s[44:45], v[188:189] op_sel:[0,0,1] op_sel_hi:[1,0,0]
	v_pk_fma_f32 v[176:177], v[102:103], s[40:41], v[174:175] op_sel:[0,0,1] op_sel_hi:[1,0,0]
	v_pk_fma_f32 v[174:175], v[102:103], s[40:41], v[174:175] op_sel:[0,0,1] op_sel_hi:[1,0,0] neg_lo:[0,0,1] neg_hi:[0,0,1]
	v_mov_b32_e32 v178, v176
	v_mov_b32_e32 v179, v175
	v_pk_add_f32 v[162:163], v[178:179], v[162:163]
	v_pk_mul_f32 v[178:179], v[148:149], s[16:17] op_sel_hi:[1,0]
	v_pk_fma_f32 v[188:189], v[138:139], s[44:45], v[188:189] op_sel:[0,0,1] op_sel_hi:[1,0,0] neg_lo:[0,0,1] neg_hi:[0,0,1]
	v_pk_fma_f32 v[180:181], v[146:147], s[30:31], v[178:179] op_sel:[0,0,1] op_sel_hi:[1,0,0]
	v_pk_fma_f32 v[178:179], v[146:147], s[30:31], v[178:179] op_sel:[0,0,1] op_sel_hi:[1,0,0] neg_lo:[0,0,1] neg_hi:[0,0,1]
	v_mov_b32_e32 v182, v180
	v_mov_b32_e32 v183, v179
	v_pk_add_f32 v[162:163], v[182:183], v[162:163]
	v_pk_mul_f32 v[182:183], v[158:159], s[14:15] op_sel_hi:[1,0]
	v_mov_b32_e32 v192, v190
	v_pk_fma_f32 v[184:185], v[156:157], s[44:45], v[182:183] op_sel:[0,0,1] op_sel_hi:[1,0,0]
	v_pk_fma_f32 v[182:183], v[156:157], s[44:45], v[182:183] op_sel:[0,0,1] op_sel_hi:[1,0,0] neg_lo:[0,0,1] neg_hi:[0,0,1]
	v_mov_b32_e32 v186, v184
	v_mov_b32_e32 v187, v183
	v_pk_add_f32 v[162:163], v[186:187], v[162:163]
	ds_write2_b64 v99, v[160:161], v[162:163] offset0:2 offset1:3
	v_pk_mul_f32 v[160:161], v[136:137], s[6:7] op_sel_hi:[1,0]
	v_mov_b32_e32 v193, v189
	v_pk_fma_f32 v[162:163], v[134:135], s[42:43], v[160:161] op_sel:[0,0,1] op_sel_hi:[1,0,0]
	v_pk_fma_f32 v[160:161], v[134:135], s[42:43], v[160:161] op_sel:[0,0,1] op_sel_hi:[1,0,0] neg_lo:[0,0,1] neg_hi:[0,0,1]
	v_mov_b32_e32 v186, v162
	v_mov_b32_e32 v187, v161
	v_pk_add_f32 v[186:187], v[60:61], v[186:187]
	v_mov_b32_e32 v133, v91
	v_pk_add_f32 v[186:187], v[192:193], v[186:187]
	v_pk_mul_f32 v[192:193], v[144:145], s[24:25] op_sel_hi:[1,0]
	v_mov_b32_e32 v95, v93
	v_pk_fma_f32 v[194:195], v[140:141], s[40:41], v[192:193] op_sel:[0,0,1] op_sel_hi:[1,0,0]
	v_pk_fma_f32 v[192:193], v[140:141], s[40:41], v[192:193] op_sel:[0,0,1] op_sel_hi:[1,0,0] neg_lo:[0,0,1] neg_hi:[0,0,1]
	v_mov_b32_e32 v196, v194
	v_mov_b32_e32 v197, v193
	v_pk_add_f32 v[186:187], v[196:197], v[186:187]
	v_pk_mul_f32 v[196:197], v[104:105], s[22:23] op_sel_hi:[1,0]
	v_pk_add_f32 v[90:91], v[60:61], v[132:133]
	v_pk_fma_f32 v[198:199], v[102:103], s[4:5], v[196:197] op_sel:[0,0,1] op_sel_hi:[1,0,0]
	v_pk_fma_f32 v[196:197], v[102:103], s[4:5], v[196:197] op_sel:[0,0,1] op_sel_hi:[1,0,0] neg_lo:[0,0,1] neg_hi:[0,0,1]
	v_mov_b32_e32 v200, v198
	v_mov_b32_e32 v201, v197
	v_pk_add_f32 v[186:187], v[200:201], v[186:187]
	v_pk_mul_f32 v[200:201], v[148:149], s[36:37] op_sel_hi:[1,0]
	v_pk_add_f32 v[90:91], v[94:95], v[90:91]
	v_pk_fma_f32 v[202:203], v[146:147], s[38:39], v[200:201] op_sel:[0,0,1] op_sel_hi:[1,0,0]
	v_pk_fma_f32 v[200:201], v[146:147], s[38:39], v[200:201] op_sel:[0,0,1] op_sel_hi:[1,0,0] neg_lo:[0,0,1] neg_hi:[0,0,1]
	v_mov_b32_e32 v204, v202
	v_mov_b32_e32 v205, v201
	v_pk_add_f32 v[186:187], v[204:205], v[186:187]
	v_pk_mul_f32 v[204:205], v[158:159], s[28:29] op_sel_hi:[1,0]
	v_mov_b32_e32 v101, v97
	v_pk_fma_f32 v[206:207], v[156:157], s[30:31], v[204:205] op_sel:[0,0,1] op_sel_hi:[1,0,0]
	v_pk_fma_f32 v[204:205], v[156:157], s[30:31], v[204:205] op_sel:[0,0,1] op_sel_hi:[1,0,0] neg_lo:[0,0,1] neg_hi:[0,0,1]
	v_pk_add_f32 v[90:91], v[100:101], v[90:91]
	v_mov_b32_e32 v109, v107
	v_mov_b32_e32 v208, v206
	v_mov_b32_e32 v209, v205
	v_pk_add_f32 v[90:91], v[108:109], v[90:91]
	v_mov_b32_e32 v153, v151
	v_pk_add_f32 v[186:187], v[208:209], v[186:187]
	v_pk_mul_f32 v[208:209], v[136:137], s[14:15] op_sel_hi:[1,0]
	v_pk_add_f32 v[90:91], v[152:153], v[90:91]
	v_pk_fma_f32 v[210:211], v[134:135], s[44:45], v[208:209] op_sel:[0,0,1] op_sel_hi:[1,0,0]
	v_pk_fma_f32 v[208:209], v[134:135], s[44:45], v[208:209] op_sel:[0,0,1] op_sel_hi:[1,0,0] neg_lo:[0,0,1] neg_hi:[0,0,1]
	v_pk_mul_f32 v[214:215], v[142:143], s[20:21] op_sel_hi:[1,0]
	v_pk_add_f32 v[132:133], v[164:165], v[90:91]
	v_pk_mul_f32 v[90:91], v[136:137], s[18:19] op_sel_hi:[1,0]
	v_mov_b32_e32 v212, v210
	v_mov_b32_e32 v213, v209
	v_pk_fma_f32 v[216:217], v[138:139], s[4:5], v[214:215] op_sel:[0,0,1] op_sel_hi:[1,0,0]
	v_pk_fma_f32 v[214:215], v[138:139], s[4:5], v[214:215] op_sel:[0,0,1] op_sel_hi:[1,0,0] neg_lo:[0,0,1] neg_hi:[0,0,1]
	v_pk_fma_f32 v[92:93], v[134:135], s[38:39], v[90:91] op_sel:[0,0,1] op_sel_hi:[1,0,0]
	v_pk_fma_f32 v[90:91], v[134:135], s[38:39], v[90:91] op_sel:[0,0,1] op_sel_hi:[1,0,0] neg_lo:[0,0,1] neg_hi:[0,0,1]
	v_pk_mul_f32 v[94:95], v[142:143], s[24:25] op_sel_hi:[1,0]
	v_pk_add_f32 v[212:213], v[60:61], v[212:213]
	v_mov_b32_e32 v218, v216
	v_mov_b32_e32 v219, v215
	v_pk_fma_f32 v[96:97], v[138:139], s[40:41], v[94:95] op_sel:[0,0,1] op_sel_hi:[1,0,0]
	v_pk_fma_f32 v[94:95], v[138:139], s[40:41], v[94:95] op_sel:[0,0,1] op_sel_hi:[1,0,0] neg_lo:[0,0,1] neg_hi:[0,0,1]
	v_mov_b32_e32 v100, v92
	v_mov_b32_e32 v101, v91
	v_pk_add_f32 v[212:213], v[218:219], v[212:213]
	v_pk_mul_f32 v[218:219], v[144:145], s[16:17] op_sel_hi:[1,0]
	v_pk_add_f32 v[100:101], v[60:61], v[100:101]
	v_mov_b32_e32 v106, v96
	v_mov_b32_e32 v107, v95
	v_pk_fma_f32 v[222:223], v[140:141], s[30:31], v[218:219] op_sel:[0,0,1] op_sel_hi:[1,0,0]
	v_pk_fma_f32 v[218:219], v[140:141], s[30:31], v[218:219] op_sel:[0,0,1] op_sel_hi:[1,0,0] neg_lo:[0,0,1] neg_hi:[0,0,1]
	v_pk_add_f32 v[100:101], v[106:107], v[100:101]
	v_pk_mul_f32 v[106:107], v[144:145], s[14:15] op_sel_hi:[1,0]
	v_mov_b32_e32 v226, v222
	v_mov_b32_e32 v227, v219
	v_pk_fma_f32 v[108:109], v[140:141], s[44:45], v[106:107] op_sel:[0,0,1] op_sel_hi:[1,0,0]
	v_pk_fma_f32 v[106:107], v[140:141], s[44:45], v[106:107] op_sel:[0,0,1] op_sel_hi:[1,0,0] neg_lo:[0,0,1] neg_hi:[0,0,1]
	v_pk_add_f32 v[212:213], v[226:227], v[212:213]
	v_pk_mul_f32 v[226:227], v[104:105], s[36:37] op_sel_hi:[1,0]
	v_mov_b32_e32 v134, v108
	v_mov_b32_e32 v135, v107
	v_pk_mul_f32 v[104:105], v[104:105], s[28:29] op_sel_hi:[1,0]
	v_pk_fma_f32 v[228:229], v[102:103], s[38:39], v[226:227] op_sel:[0,0,1] op_sel_hi:[1,0,0]
	v_pk_fma_f32 v[226:227], v[102:103], s[38:39], v[226:227] op_sel:[0,0,1] op_sel_hi:[1,0,0] neg_lo:[0,0,1] neg_hi:[0,0,1]
	v_pk_add_f32 v[100:101], v[134:135], v[100:101]
	v_pk_fma_f32 v[134:135], v[102:103], s[30:31], v[104:105] op_sel:[0,0,1] op_sel_hi:[1,0,0]
	v_pk_fma_f32 v[102:103], v[102:103], s[30:31], v[104:105] op_sel:[0,0,1] op_sel_hi:[1,0,0] neg_lo:[0,0,1] neg_hi:[0,0,1]
	v_mov_b32_e32 v104, v134
	v_mov_b32_e32 v105, v103
	v_pk_add_f32 v[100:101], v[104:105], v[100:101]
	v_pk_mul_f32 v[104:105], v[148:149], s[6:7] op_sel_hi:[1,0]
	v_mov_b32_e32 v91, v93
	v_pk_fma_f32 v[136:137], v[146:147], s[42:43], v[104:105] op_sel:[0,0,1] op_sel_hi:[1,0,0]
	v_pk_fma_f32 v[104:105], v[146:147], s[42:43], v[104:105] op_sel:[0,0,1] op_sel_hi:[1,0,0] neg_lo:[0,0,1] neg_hi:[0,0,1]
	v_pk_add_f32 v[90:91], v[60:61], v[90:91]
	v_mov_b32_e32 v95, v97
	v_mov_b32_e32 v138, v136
	;; [unrolled: 1-line block ×3, first 2 shown]
	v_pk_add_f32 v[90:91], v[94:95], v[90:91]
	v_mov_b32_e32 v107, v109
	v_pk_add_f32 v[100:101], v[138:139], v[100:101]
	v_pk_mul_f32 v[138:139], v[158:159], s[20:21] op_sel_hi:[1,0]
	v_pk_add_f32 v[90:91], v[106:107], v[90:91]
	v_mov_b32_e32 v103, v135
	v_pk_fma_f32 v[140:141], v[156:157], s[4:5], v[138:139] op_sel:[0,0,1] op_sel_hi:[1,0,0]
	v_pk_fma_f32 v[138:139], v[156:157], s[4:5], v[138:139] op_sel:[0,0,1] op_sel_hi:[1,0,0] neg_lo:[0,0,1] neg_hi:[0,0,1]
	v_pk_add_f32 v[90:91], v[102:103], v[90:91]
	v_mov_b32_e32 v105, v137
	v_mov_b32_e32 v230, v228
	;; [unrolled: 1-line block ×5, first 2 shown]
	v_pk_add_f32 v[90:91], v[104:105], v[90:91]
	v_mov_b32_e32 v139, v141
	v_pk_add_f32 v[212:213], v[230:231], v[212:213]
	v_pk_mul_f32 v[230:231], v[148:149], s[24:25] op_sel_hi:[1,0]
	v_pk_add_f32 v[100:101], v[142:143], v[100:101]
	v_pk_add_f32 v[90:91], v[138:139], v[90:91]
	v_mov_b32_e32 v209, v211
	v_mov_b32_e32 v161, v163
	;; [unrolled: 1-line block ×4, first 2 shown]
	v_pk_fma_f32 v[232:233], v[146:147], s[40:41], v[230:231] op_sel:[0,0,1] op_sel_hi:[1,0,0]
	v_pk_fma_f32 v[230:231], v[146:147], s[40:41], v[230:231] op_sel:[0,0,1] op_sel_hi:[1,0,0] neg_lo:[0,0,1] neg_hi:[0,0,1]
	ds_write2_b64 v99, v[100:101], v[90:91] offset0:6 offset1:7
	v_pk_add_f32 v[90:91], v[60:61], v[208:209]
	v_mov_b32_e32 v215, v217
	v_pk_add_f32 v[92:93], v[60:61], v[160:161]
	v_mov_b32_e32 v189, v191
	;; [unrolled: 2-line block ×4, first 2 shown]
	v_mov_b32_e32 v234, v232
	v_mov_b32_e32 v235, v231
	v_pk_add_f32 v[90:91], v[214:215], v[90:91]
	v_mov_b32_e32 v219, v223
	v_pk_add_f32 v[92:93], v[188:189], v[92:93]
	v_mov_b32_e32 v193, v195
	v_pk_add_f32 v[86:87], v[166:167], v[86:87]
	v_mov_b32_e32 v171, v173
	v_pk_add_f32 v[60:61], v[72:73], v[60:61]
	v_mov_b32_e32 v77, v75
	v_pk_add_f32 v[212:213], v[234:235], v[212:213]
	v_pk_mul_f32 v[234:235], v[158:159], s[6:7] op_sel_hi:[1,0]
	v_pk_add_f32 v[90:91], v[218:219], v[90:91]
	v_mov_b32_e32 v227, v229
	v_pk_add_f32 v[92:93], v[192:193], v[92:93]
	v_mov_b32_e32 v197, v199
	;; [unrolled: 2-line block ×4, first 2 shown]
	v_pk_fma_f32 v[236:237], v[156:157], s[42:43], v[234:235] op_sel:[0,0,1] op_sel_hi:[1,0,0]
	v_pk_fma_f32 v[234:235], v[156:157], s[42:43], v[234:235] op_sel:[0,0,1] op_sel_hi:[1,0,0] neg_lo:[0,0,1] neg_hi:[0,0,1]
	v_pk_add_f32 v[90:91], v[226:227], v[90:91]
	v_mov_b32_e32 v231, v233
	v_pk_add_f32 v[92:93], v[196:197], v[92:93]
	v_mov_b32_e32 v201, v203
	;; [unrolled: 2-line block ×4, first 2 shown]
	v_mov_b32_e32 v238, v236
	v_mov_b32_e32 v239, v235
	v_pk_add_f32 v[90:91], v[230:231], v[90:91]
	v_mov_b32_e32 v235, v237
	v_pk_add_f32 v[92:93], v[200:201], v[92:93]
	;; [unrolled: 2-line block ×3, first 2 shown]
	v_mov_b32_e32 v183, v185
	v_mov_b32_e32 v63, v65
	v_pk_add_f32 v[60:61], v[130:131], v[60:61]
	v_pk_add_f32 v[212:213], v[238:239], v[212:213]
	;; [unrolled: 1-line block ×6, first 2 shown]
	v_add_u32_e32 v64, 0x1e00, v84
	v_add_u32_e32 v68, 0x1400, v84
	ds_write2_b64 v99, v[186:187], v[212:213] offset0:4 offset1:5
	ds_write2_b64 v99, v[90:91], v[92:93] offset0:8 offset1:9
	;; [unrolled: 1-line block ×3, first 2 shown]
	ds_write_b64 v99, v[132:133] offset:96
	s_waitcnt lgkmcnt(0)
	s_barrier
	ds_read2_b64 v[72:75], v84 offset1:156
	ds_read2_b64 v[60:63], v221 offset0:56 offset1:251
	ds_read2_b64 v[80:83], v64 offset0:54 offset1:210
	v_add_u32_e32 v64, 0x2800, v84
	ds_read2_b64 v[76:79], v68 offset0:23 offset1:179
	v_add_u32_e32 v68, 0x3400, v84
	ds_read2_b64 v[64:67], v64 offset0:46 offset1:241
	ds_read2_b64 v[68:71], v68 offset0:13 offset1:169
                                        ; implicit-def: $vgpr142
	s_and_saveexec_b64 s[4:5], s[2:3]
	s_xor_b64 s[2:3], exec, s[4:5]
; %bb.10:
	v_mov_b32_e32 v142, v125
; %bb.11:
	s_or_saveexec_b64 s[2:3], s[2:3]
	v_mov_b32_e32 v140, v12
	v_mov_b32_e32 v141, v12
	;; [unrolled: 1-line block ×15, first 2 shown]
	s_xor_b64 exec, exec, s[2:3]
	s_cbranch_execz .LBB0_13
; %bb.12:
	ds_read_b64 v[86:87], v84 offset:7800
	ds_read_b64 v[126:127], v84 offset:11856
	;; [unrolled: 1-line block ×4, first 2 shown]
	s_waitcnt lgkmcnt(3)
	v_mov_b32_e32 v128, v86
	s_waitcnt lgkmcnt(2)
	v_mov_b32_e32 v129, v127
	v_mov_b32_e32 v127, v87
	s_waitcnt lgkmcnt(1)
	v_mov_b32_e32 v142, v125
.LBB0_13:
	s_or_b64 exec, exec, s[2:3]
	s_waitcnt lgkmcnt(3)
	v_pk_mul_f32 v[94:95], v[6:7], v[82:83]
	v_pk_mul_f32 v[6:7], v[16:17], v[126:127] op_sel:[0,1]
	s_waitcnt lgkmcnt(1)
	v_pk_mul_f32 v[86:87], v[120:121], v[66:67]
	v_pk_mul_f32 v[120:121], v[18:19], v[128:129] op_sel:[0,1]
	v_pk_fma_f32 v[144:145], v[16:17], v[128:129], v[6:7] op_sel:[0,0,1] op_sel_hi:[1,1,0]
	v_pk_fma_f32 v[6:7], v[16:17], v[128:129], v[6:7] op_sel:[0,0,1] op_sel_hi:[1,0,0] neg_lo:[1,0,0] neg_hi:[1,0,0]
	v_pk_mul_f32 v[142:143], v[122:123], v[142:143] op_sel_hi:[1,0]
	v_mov_b32_e32 v145, v7
	v_pk_fma_f32 v[6:7], v[18:19], v[126:127], v[120:121] op_sel:[0,0,1] op_sel_hi:[1,1,0]
	v_pk_fma_f32 v[16:17], v[18:19], v[126:127], v[120:121] op_sel:[0,0,1] op_sel_hi:[1,0,0] neg_lo:[1,0,0] neg_hi:[1,0,0]
	v_pk_fma_f32 v[18:19], v[122:123], v[124:125], v[142:143] op_sel:[0,0,1] op_sel_hi:[1,0,0] neg_lo:[1,0,0] neg_hi:[1,0,0]
	v_mov_b32_e32 v7, v17
	v_pk_fma_f32 v[16:17], v[122:123], v[124:125], v[142:143] op_sel:[0,0,1] op_sel_hi:[1,1,0]
	v_pk_mul_f32 v[12:13], v[12:13], v[62:63]
	v_mov_b32_e32 v17, v19
	s_waitcnt lgkmcnt(0)
	v_pk_add_f32 v[18:19], v[132:133], v[6:7] neg_lo:[0,1] neg_hi:[0,1]
	v_pk_add_f32 v[16:17], v[144:145], v[16:17] neg_lo:[0,1] neg_hi:[0,1]
	v_pk_fma_f32 v[6:7], v[132:133], 2.0, v[18:19] op_sel_hi:[1,0,1] neg_lo:[0,0,1] neg_hi:[0,0,1]
	v_pk_fma_f32 v[120:121], v[144:145], 2.0, v[16:17] op_sel_hi:[1,0,1] neg_lo:[0,0,1] neg_hi:[0,0,1]
	v_pk_mul_f32 v[14:15], v[14:15], v[80:81]
	v_pk_add_f32 v[122:123], v[6:7], v[120:121] neg_lo:[0,1] neg_hi:[0,1]
	v_pk_mul_f32 v[90:91], v[4:5], v[76:77] op_sel_hi:[1,0]
	v_pk_fma_f32 v[120:121], v[6:7], 2.0, v[122:123] op_sel_hi:[1,0,1] neg_lo:[0,0,1] neg_hi:[0,0,1]
	v_pk_add_f32 v[6:7], v[18:19], v[16:17] op_sel:[0,1] op_sel_hi:[1,0]
	v_pk_add_f32 v[16:17], v[18:19], v[16:17] op_sel:[0,1] op_sel_hi:[1,0] neg_lo:[0,1] neg_hi:[0,1]
	v_mov_b32_e32 v92, v77
	v_mov_b32_e32 v7, v17
	v_pk_fma_f32 v[16:17], v[140:141], v[62:63], v[12:13] op_sel:[0,0,1] op_sel_hi:[1,1,0]
	v_pk_fma_f32 v[12:13], v[140:141], v[62:63], v[12:13] op_sel:[0,0,1] op_sel_hi:[1,1,0] neg_lo:[0,0,1] neg_hi:[0,0,1]
	v_pk_fma_f32 v[124:125], v[18:19], 2.0, v[6:7] op_sel_hi:[1,0,1] neg_lo:[0,0,1] neg_hi:[0,0,1]
	v_mov_b32_e32 v17, v13
	v_pk_fma_f32 v[12:13], v[138:139], v[80:81], v[14:15] op_sel:[0,0,1] op_sel_hi:[1,1,0]
	v_pk_fma_f32 v[14:15], v[138:139], v[80:81], v[14:15] op_sel:[0,0,1] op_sel_hi:[1,1,0] neg_lo:[0,0,1] neg_hi:[0,0,1]
	v_pk_fma_f32 v[18:19], v[136:137], v[66:67], v[86:87] op_sel:[0,0,1] op_sel_hi:[1,1,0] neg_lo:[0,0,1] neg_hi:[0,0,1]
	v_mov_b32_e32 v13, v15
	v_pk_fma_f32 v[14:15], v[136:137], v[66:67], v[86:87] op_sel:[0,0,1] op_sel_hi:[1,1,0]
	v_pk_add_f32 v[12:13], v[72:73], v[12:13] neg_lo:[0,1] neg_hi:[0,1]
	v_mov_b32_e32 v15, v19
	v_pk_add_f32 v[14:15], v[16:17], v[14:15] neg_lo:[0,1] neg_hi:[0,1]
	v_pk_fma_f32 v[18:19], v[72:73], 2.0, v[12:13] op_sel_hi:[1,0,1] neg_lo:[0,0,1] neg_hi:[0,0,1]
	v_pk_fma_f32 v[16:17], v[16:17], 2.0, v[14:15] op_sel_hi:[1,0,1] neg_lo:[0,0,1] neg_hi:[0,0,1]
	v_pk_add_f32 v[62:63], v[12:13], v[14:15] op_sel:[0,1] op_sel_hi:[1,0]
	v_pk_add_f32 v[14:15], v[12:13], v[14:15] op_sel:[0,1] op_sel_hi:[1,0] neg_lo:[0,1] neg_hi:[0,1]
	v_pk_add_f32 v[16:17], v[18:19], v[16:17] neg_lo:[0,1] neg_hi:[0,1]
	v_mov_b32_e32 v63, v15
	v_pk_fma_f32 v[18:19], v[18:19], 2.0, v[16:17] op_sel_hi:[1,0,1] neg_lo:[0,0,1] neg_hi:[0,0,1]
	v_pk_fma_f32 v[12:13], v[12:13], 2.0, v[62:63] op_sel_hi:[1,0,1] neg_lo:[0,0,1] neg_hi:[0,0,1]
	v_accvgpr_read_b32 v14, a22
	s_barrier
	ds_write2_b64 v14, v[18:19], v[12:13] offset1:13
	ds_write2_b64 v14, v[16:17], v[62:63] offset0:26 offset1:39
	v_pk_fma_f32 v[12:13], v[4:5], v[92:93], v[90:91] op_sel:[0,0,1] op_sel_hi:[1,1,0] neg_lo:[0,0,1] neg_hi:[0,0,1]
	v_pk_fma_f32 v[4:5], v[4:5], v[76:77], v[90:91] op_sel:[0,1,1] op_sel_hi:[1,1,0]
	v_pk_mul_f32 v[96:97], v[116:117], v[68:69] op_sel_hi:[1,0]
	v_mov_b32_e32 v100, v69
	v_mov_b32_e32 v13, v5
	v_pk_fma_f32 v[4:5], v[134:135], v[82:83], v[94:95] op_sel:[0,0,1] op_sel_hi:[1,1,0]
	v_pk_fma_f32 v[14:15], v[134:135], v[82:83], v[94:95] op_sel:[0,0,1] op_sel_hi:[1,1,0] neg_lo:[0,0,1] neg_hi:[0,0,1]
	v_pk_fma_f32 v[16:17], v[116:117], v[68:69], v[96:97] op_sel:[0,1,1] op_sel_hi:[1,1,0]
	v_mov_b32_e32 v5, v15
	v_pk_fma_f32 v[14:15], v[116:117], v[100:101], v[96:97] op_sel:[0,0,1] op_sel_hi:[1,1,0] neg_lo:[0,0,1] neg_hi:[0,0,1]
	v_pk_add_f32 v[4:5], v[74:75], v[4:5] neg_lo:[0,1] neg_hi:[0,1]
	v_mov_b32_e32 v15, v17
	v_pk_add_f32 v[14:15], v[12:13], v[14:15] neg_lo:[0,1] neg_hi:[0,1]
	v_pk_mul_f32 v[102:103], v[8:9], v[78:79] op_sel_hi:[1,0]
	v_pk_add_f32 v[16:17], v[4:5], v[14:15]
	v_pk_add_f32 v[18:19], v[4:5], v[14:15] neg_lo:[0,1] neg_hi:[0,1]
	v_pk_fma_f32 v[12:13], v[12:13], 2.0, v[14:15] op_sel_hi:[1,0,1] neg_lo:[0,0,1] neg_hi:[0,0,1]
	v_mov_b32_e32 v17, v19
	v_pk_fma_f32 v[18:19], v[4:5], 2.0, v[16:17] op_sel_hi:[1,0,1] neg_lo:[0,0,1] neg_hi:[0,0,1]
	v_pk_fma_f32 v[4:5], v[74:75], 2.0, v[4:5] op_sel_hi:[1,0,1] neg_lo:[0,0,1] neg_hi:[0,0,1]
	v_mov_b32_e32 v104, v79
	v_pk_add_f32 v[12:13], v[4:5], v[12:13] op_sel:[0,1] op_sel_hi:[1,0] neg_lo:[0,1] neg_hi:[0,1]
	v_accvgpr_read_b32 v14, a23
	v_pk_fma_f32 v[4:5], v[4:5], 2.0, v[12:13] op_sel_hi:[1,0,1] neg_lo:[0,0,1] neg_hi:[0,0,1]
	v_pk_mul_f32 v[10:11], v[10:11], v[64:65]
	ds_write2_b64 v14, v[4:5], v[18:19] offset1:13
	ds_write2_b64 v14, v[12:13], v[16:17] offset0:26 offset1:39
	v_pk_fma_f32 v[4:5], v[8:9], v[104:105], v[102:103] op_sel:[0,0,1] op_sel_hi:[1,1,0] neg_lo:[0,0,1] neg_hi:[0,0,1]
	v_pk_fma_f32 v[8:9], v[8:9], v[78:79], v[102:103] op_sel:[0,1,1] op_sel_hi:[1,1,0]
	v_pk_mul_f32 v[106:107], v[118:119], v[70:71] op_sel_hi:[1,0]
	v_mov_b32_e32 v108, v71
	v_mov_b32_e32 v5, v9
	v_pk_fma_f32 v[8:9], v[130:131], v[64:65], v[10:11] op_sel:[0,0,1] op_sel_hi:[1,1,0]
	v_pk_fma_f32 v[10:11], v[130:131], v[64:65], v[10:11] op_sel:[0,0,1] op_sel_hi:[1,1,0] neg_lo:[0,0,1] neg_hi:[0,0,1]
	v_pk_fma_f32 v[12:13], v[118:119], v[70:71], v[106:107] op_sel:[0,1,1] op_sel_hi:[1,1,0]
	v_mov_b32_e32 v9, v11
	v_pk_fma_f32 v[10:11], v[118:119], v[108:109], v[106:107] op_sel:[0,0,1] op_sel_hi:[1,1,0] neg_lo:[0,0,1] neg_hi:[0,0,1]
	v_pk_add_f32 v[8:9], v[60:61], v[8:9] neg_lo:[0,1] neg_hi:[0,1]
	v_mov_b32_e32 v11, v13
	v_pk_add_f32 v[10:11], v[4:5], v[10:11] neg_lo:[0,1] neg_hi:[0,1]
	s_nop 0
	v_pk_add_f32 v[12:13], v[8:9], v[10:11]
	v_pk_add_f32 v[14:15], v[8:9], v[10:11] neg_lo:[0,1] neg_hi:[0,1]
	v_pk_fma_f32 v[4:5], v[4:5], 2.0, v[10:11] op_sel_hi:[1,0,1] neg_lo:[0,0,1] neg_hi:[0,0,1]
	v_mov_b32_e32 v13, v15
	v_pk_fma_f32 v[14:15], v[8:9], 2.0, v[12:13] op_sel_hi:[1,0,1] neg_lo:[0,0,1] neg_hi:[0,0,1]
	v_pk_fma_f32 v[8:9], v[60:61], 2.0, v[8:9] op_sel_hi:[1,0,1] neg_lo:[0,0,1] neg_hi:[0,0,1]
	v_accvgpr_read_b32 v10, a24
	v_pk_add_f32 v[4:5], v[8:9], v[4:5] op_sel:[0,1] op_sel_hi:[1,0] neg_lo:[0,1] neg_hi:[0,1]
	s_nop 0
	v_pk_fma_f32 v[8:9], v[8:9], 2.0, v[4:5] op_sel_hi:[1,0,1] neg_lo:[0,0,1] neg_hi:[0,0,1]
	ds_write2_b64 v10, v[8:9], v[14:15] offset1:13
	ds_write2_b64 v10, v[4:5], v[12:13] offset0:26 offset1:39
	s_and_saveexec_b64 s[2:3], vcc
	s_cbranch_execz .LBB0_15
; %bb.14:
	v_accvgpr_read_b32 v4, a20
	v_accvgpr_read_b32 v5, a21
	v_mad_legacy_u16 v4, v4, 52, v5
	v_lshlrev_b32_e32 v4, 3, v4
	ds_write2_b64 v4, v[120:121], v[124:125] offset1:13
	ds_write2_b64 v4, v[122:123], v[6:7] offset0:26 offset1:39
.LBB0_15:
	s_or_b64 exec, exec, s[2:3]
	v_add_u32_e32 v4, 0x1400, v84
	s_waitcnt lgkmcnt(0)
	s_barrier
	ds_read2_b64 v[64:67], v4 offset0:36 offset1:192
	v_add_u32_e32 v4, 0x2800, v84
	v_add_u32_e32 v8, 0x1c00, v84
	ds_read2_b64 v[60:63], v4 offset0:72 offset1:228
	v_add_u32_e32 v4, 0x800, v84
	ds_read2_b64 v[12:15], v8 offset0:92 offset1:248
	v_add_u32_e32 v8, 0x3400, v84
	ds_read2_b64 v[16:19], v84 offset1:156
	ds_read2_b64 v[4:7], v4 offset0:56 offset1:212
	ds_read2_b64 v[8:11], v8 offset1:156
	v_mov_b32_e32 v138, v24
	v_mov_b32_e32 v139, v24
	;; [unrolled: 1-line block ×24, first 2 shown]
	s_and_saveexec_b64 s[2:3], s[0:1]
	s_cbranch_execz .LBB0_17
; %bb.16:
	ds_read_b64 v[120:121], v84 offset:4992
	ds_read_b64 v[124:125], v84 offset:10400
	ds_read_b64 v[122:123], v84 offset:15808
.LBB0_17:
	s_or_b64 exec, exec, s[2:3]
	s_waitcnt lgkmcnt(5)
	v_pk_mul_f32 v[24:25], v[24:25], v[64:65]
	s_waitcnt lgkmcnt(4)
	v_pk_mul_f32 v[26:27], v[26:27], v[60:61]
	v_pk_fma_f32 v[86:87], v[138:139], v[64:65], v[24:25] op_sel:[0,0,1] op_sel_hi:[1,1,0]
	v_pk_fma_f32 v[24:25], v[138:139], v[64:65], v[24:25] op_sel:[0,0,1] op_sel_hi:[1,1,0] neg_lo:[0,0,1] neg_hi:[0,0,1]
	s_mov_b32 s2, 0x3f5db3d7
	v_mov_b32_e32 v87, v25
	v_pk_fma_f32 v[24:25], v[136:137], v[60:61], v[26:27] op_sel:[0,0,1] op_sel_hi:[1,1,0]
	v_pk_fma_f32 v[26:27], v[136:137], v[60:61], v[26:27] op_sel:[0,0,1] op_sel_hi:[1,1,0] neg_lo:[0,0,1] neg_hi:[0,0,1]
	v_pk_mul_f32 v[20:21], v[20:21], v[66:67]
	v_mov_b32_e32 v25, v27
	s_waitcnt lgkmcnt(2)
	v_pk_add_f32 v[26:27], v[16:17], v[86:87]
	v_pk_add_f32 v[60:61], v[86:87], v[24:25]
	;; [unrolled: 1-line block ×3, first 2 shown]
	v_pk_add_f32 v[24:25], v[86:87], v[24:25] neg_lo:[0,1] neg_hi:[0,1]
	v_pk_fma_f32 v[16:17], v[60:61], 0.5, v[16:17] op_sel_hi:[1,0,1] neg_lo:[1,0,0] neg_hi:[1,0,0]
	v_pk_mul_f32 v[24:25], v[24:25], s[2:3] op_sel_hi:[1,0]
	v_pk_mul_f32 v[22:23], v[22:23], v[62:63]
	v_pk_add_f32 v[60:61], v[16:17], v[24:25] op_sel:[0,1] op_sel_hi:[1,0] neg_lo:[0,1] neg_hi:[0,1]
	v_pk_add_f32 v[16:17], v[16:17], v[24:25] op_sel:[0,1] op_sel_hi:[1,0]
	s_waitcnt lgkmcnt(0)
	v_mov_b32_e32 v25, v17
	v_mov_b32_e32 v17, v61
	s_barrier
	ds_write_b64 v225, v[16:17] offset:832
	v_pk_fma_f32 v[16:17], v[134:135], v[66:67], v[20:21] op_sel:[0,0,1] op_sel_hi:[1,1,0]
	v_pk_fma_f32 v[20:21], v[134:135], v[66:67], v[20:21] op_sel:[0,0,1] op_sel_hi:[1,1,0] neg_lo:[0,0,1] neg_hi:[0,0,1]
	v_mov_b32_e32 v24, v60
	v_mov_b32_e32 v17, v21
	v_pk_fma_f32 v[20:21], v[132:133], v[62:63], v[22:23] op_sel:[0,0,1] op_sel_hi:[1,1,0]
	v_pk_fma_f32 v[22:23], v[132:133], v[62:63], v[22:23] op_sel:[0,0,1] op_sel_hi:[1,1,0] neg_lo:[0,0,1] neg_hi:[0,0,1]
	ds_write2_b64 v225, v[26:27], v[24:25] offset1:52
	v_mov_b32_e32 v21, v23
	v_pk_add_f32 v[22:23], v[16:17], v[20:21]
	v_pk_add_f32 v[24:25], v[16:17], v[20:21] neg_lo:[0,1] neg_hi:[0,1]
	v_pk_fma_f32 v[22:23], v[22:23], 0.5, v[18:19] op_sel_hi:[1,0,1] neg_lo:[1,0,0] neg_hi:[1,0,0]
	v_pk_mul_f32 v[24:25], v[24:25], s[2:3] op_sel_hi:[1,0]
	v_pk_add_f32 v[16:17], v[18:19], v[16:17]
	v_pk_add_f32 v[26:27], v[22:23], v[24:25] op_sel:[0,1] op_sel_hi:[1,0]
	v_pk_add_f32 v[22:23], v[22:23], v[24:25] op_sel:[0,1] op_sel_hi:[1,0] neg_lo:[0,1] neg_hi:[0,1]
	v_pk_mul_f32 v[28:29], v[28:29], v[12:13]
	v_pk_add_f32 v[16:17], v[16:17], v[20:21]
	v_mov_b32_e32 v18, v22
	v_mov_b32_e32 v19, v27
	v_accvgpr_read_b32 v20, a25
	v_pk_mul_f32 v[30:31], v[30:31], v[8:9]
	ds_write2_b64 v20, v[16:17], v[18:19] offset1:52
	v_pk_fma_f32 v[16:17], v[128:129], v[12:13], v[28:29] op_sel:[0,0,1] op_sel_hi:[1,1,0]
	v_pk_fma_f32 v[12:13], v[128:129], v[12:13], v[28:29] op_sel:[0,0,1] op_sel_hi:[1,1,0] neg_lo:[0,0,1] neg_hi:[0,0,1]
	v_mov_b32_e32 v27, v23
	v_mov_b32_e32 v17, v13
	v_pk_fma_f32 v[12:13], v[126:127], v[8:9], v[30:31] op_sel:[0,0,1] op_sel_hi:[1,1,0]
	v_pk_fma_f32 v[8:9], v[126:127], v[8:9], v[30:31] op_sel:[0,0,1] op_sel_hi:[1,1,0] neg_lo:[0,0,1] neg_hi:[0,0,1]
	ds_write_b64 v20, v[26:27] offset:832
	v_mov_b32_e32 v13, v9
	v_pk_add_f32 v[8:9], v[16:17], v[12:13]
	v_pk_add_f32 v[18:19], v[16:17], v[12:13] neg_lo:[0,1] neg_hi:[0,1]
	v_pk_fma_f32 v[8:9], v[8:9], 0.5, v[4:5] op_sel_hi:[1,0,1] neg_lo:[1,0,0] neg_hi:[1,0,0]
	v_pk_mul_f32 v[18:19], v[18:19], s[2:3] op_sel_hi:[1,0]
	v_pk_add_f32 v[4:5], v[4:5], v[16:17]
	v_pk_add_f32 v[20:21], v[8:9], v[18:19] op_sel:[0,1] op_sel_hi:[1,0]
	v_pk_add_f32 v[8:9], v[8:9], v[18:19] op_sel:[0,1] op_sel_hi:[1,0] neg_lo:[0,1] neg_hi:[0,1]
	v_pk_mul_f32 v[40:41], v[40:41], v[14:15]
	v_pk_add_f32 v[4:5], v[4:5], v[12:13]
	v_mov_b32_e32 v12, v8
	v_mov_b32_e32 v13, v21
	v_pk_mul_f32 v[42:43], v[42:43], v[10:11]
	ds_write2_b64 v89, v[4:5], v[12:13] offset1:52
	v_mov_b32_e32 v21, v9
	v_pk_fma_f32 v[4:5], v[118:119], v[14:15], v[40:41] op_sel:[0,0,1] op_sel_hi:[1,1,0]
	v_pk_fma_f32 v[8:9], v[118:119], v[14:15], v[40:41] op_sel:[0,0,1] op_sel_hi:[1,1,0] neg_lo:[0,0,1] neg_hi:[0,0,1]
	v_mov_b32_e32 v116, v34
	v_mov_b32_e32 v5, v9
	v_pk_fma_f32 v[8:9], v[130:131], v[10:11], v[42:43] op_sel:[0,0,1] op_sel_hi:[1,1,0]
	v_pk_fma_f32 v[10:11], v[130:131], v[10:11], v[42:43] op_sel:[0,0,1] op_sel_hi:[1,1,0] neg_lo:[0,0,1] neg_hi:[0,0,1]
	v_mov_b32_e32 v117, v34
	v_mov_b32_e32 v9, v11
	v_pk_add_f32 v[10:11], v[4:5], v[8:9]
	v_pk_add_f32 v[12:13], v[4:5], v[8:9] neg_lo:[0,1] neg_hi:[0,1]
	v_pk_fma_f32 v[10:11], v[10:11], 0.5, v[6:7] op_sel_hi:[1,0,1] neg_lo:[1,0,0] neg_hi:[1,0,0]
	v_pk_mul_f32 v[12:13], v[12:13], s[2:3] op_sel_hi:[1,0]
	v_pk_add_f32 v[4:5], v[6:7], v[4:5]
	v_pk_add_f32 v[14:15], v[10:11], v[12:13] op_sel:[0,1] op_sel_hi:[1,0]
	v_pk_add_f32 v[10:11], v[10:11], v[12:13] op_sel:[0,1] op_sel_hi:[1,0] neg_lo:[0,1] neg_hi:[0,1]
	v_mov_b32_e32 v34, v35
	v_mov_b32_e32 v82, v48
	;; [unrolled: 1-line block ×25, first 2 shown]
	v_pk_add_f32 v[4:5], v[4:5], v[8:9]
	v_mov_b32_e32 v6, v10
	v_mov_b32_e32 v7, v15
	v_mov_b32_e32 v15, v11
	ds_write_b64 v89, v[20:21] offset:832
	ds_write2_b64 v220, v[4:5], v[6:7] offset1:52
	ds_write_b64 v220, v[14:15] offset:832
	s_and_saveexec_b64 s[4:5], s[0:1]
	s_cbranch_execz .LBB0_19
; %bb.18:
	v_pk_mul_f32 v[4:5], v[0:1], v[124:125] op_sel:[0,1]
	v_pk_mul_f32 v[6:7], v[2:3], v[122:123] op_sel:[0,1]
	v_pk_fma_f32 v[8:9], v[0:1], v[124:125], v[4:5] op_sel:[0,0,1] op_sel_hi:[1,1,0]
	v_pk_fma_f32 v[0:1], v[0:1], v[124:125], v[4:5] op_sel:[0,0,1] op_sel_hi:[1,0,0] neg_lo:[1,0,0] neg_hi:[1,0,0]
	s_nop 0
	v_mov_b32_e32 v9, v1
	v_pk_fma_f32 v[0:1], v[2:3], v[122:123], v[6:7] op_sel:[0,0,1] op_sel_hi:[1,1,0]
	v_pk_fma_f32 v[2:3], v[2:3], v[122:123], v[6:7] op_sel:[0,0,1] op_sel_hi:[1,0,0] neg_lo:[1,0,0] neg_hi:[1,0,0]
	s_nop 0
	v_mov_b32_e32 v1, v3
	v_pk_add_f32 v[2:3], v[0:1], v[8:9]
	v_pk_add_f32 v[4:5], v[8:9], v[0:1] neg_lo:[0,1] neg_hi:[0,1]
	v_pk_fma_f32 v[2:3], -0.5, v[2:3], v[120:121] op_sel_hi:[0,1,1]
	v_pk_mul_f32 v[4:5], v[4:5], s[2:3] op_sel_hi:[1,0]
	s_nop 0
	v_pk_add_f32 v[6:7], v[2:3], v[4:5] op_sel:[0,1] op_sel_hi:[1,0]
	v_pk_add_f32 v[2:3], v[2:3], v[4:5] op_sel:[0,1] op_sel_hi:[1,0] neg_lo:[0,1] neg_hi:[0,1]
	v_pk_add_f32 v[4:5], v[8:9], v[120:121]
	v_accvgpr_read_b32 v8, a26
	v_pk_add_f32 v[0:1], v[0:1], v[4:5]
	v_mov_b32_e32 v4, v2
	v_mov_b32_e32 v5, v7
	v_add_u32_e32 v2, 0x3800, v8
	v_mov_b32_e32 v7, v3
	ds_write2_b64 v2, v[0:1], v[4:5] offset0:80 offset1:132
	ds_write_b64 v8, v[6:7] offset:15808
.LBB0_19:
	s_or_b64 exec, exec, s[4:5]
	v_add_u32_e32 v63, 0x1200, v84
	s_waitcnt lgkmcnt(0)
	s_barrier
	ds_read2_b64 v[8:11], v63 offset0:48 offset1:204
	v_add_u32_e32 v62, 0x1c00, v84
	ds_read2_b64 v[12:15], v62 offset0:40 offset1:196
	v_add_u32_e32 v61, 0x2400, v84
	ds_read2_b64 v[16:19], v61 offset0:96 offset1:252
	s_waitcnt lgkmcnt(2)
	v_pk_mul_f32 v[26:27], v[34:35], v[8:9]
	v_add_u32_e32 v60, 0x3000, v84
	v_pk_fma_f32 v[28:29], v[116:117], v[8:9], v[26:27] op_sel:[0,0,1] op_sel_hi:[1,1,0]
	v_pk_fma_f32 v[8:9], v[116:117], v[8:9], v[26:27] op_sel:[0,0,1] op_sel_hi:[1,1,0] neg_lo:[0,0,1] neg_hi:[0,0,1]
	ds_read2_b64 v[0:3], v84 offset1:156
	v_mov_b32_e32 v29, v9
	v_pk_mul_f32 v[8:9], v[48:49], v[10:11]
	ds_read2_b64 v[20:23], v60 offset0:24 offset1:180
	ds_read_b64 v[24:25], v84 offset:14976
	v_pk_fma_f32 v[26:27], v[82:83], v[10:11], v[8:9] op_sel:[0,0,1] op_sel_hi:[1,1,0]
	v_pk_fma_f32 v[8:9], v[82:83], v[10:11], v[8:9] op_sel:[0,0,1] op_sel_hi:[1,1,0] neg_lo:[0,0,1] neg_hi:[0,0,1]
	v_add_u32_e32 v85, 0x800, v84
	v_mov_b32_e32 v27, v9
	s_waitcnt lgkmcnt(4)
	v_pk_mul_f32 v[8:9], v[50:51], v[12:13]
	v_mad_u64_u32 v[6:7], s[0:1], s10, v98, 0
	v_pk_fma_f32 v[30:31], v[80:81], v[12:13], v[8:9] op_sel:[0,0,1] op_sel_hi:[1,1,0]
	v_pk_fma_f32 v[8:9], v[80:81], v[12:13], v[8:9] op_sel:[0,0,1] op_sel_hi:[1,1,0] neg_lo:[0,0,1] neg_hi:[0,0,1]
	s_mov_b32 s2, 0xbeedf032
	v_mov_b32_e32 v31, v9
	v_pk_mul_f32 v[8:9], v[44:45], v[14:15]
	s_mov_b32 s0, 0x3f62ad3f
	v_pk_fma_f32 v[34:35], v[78:79], v[14:15], v[8:9] op_sel:[0,0,1] op_sel_hi:[1,1,0]
	v_pk_fma_f32 v[8:9], v[78:79], v[14:15], v[8:9] op_sel:[0,0,1] op_sel_hi:[1,1,0] neg_lo:[0,0,1] neg_hi:[0,0,1]
	s_mov_b32 s16, 0xbf52af12
	v_mov_b32_e32 v35, v9
	s_waitcnt lgkmcnt(3)
	v_pk_mul_f32 v[8:9], v[46:47], v[16:17]
	s_mov_b32 s24, 0xbf7e222b
	v_pk_fma_f32 v[40:41], v[76:77], v[16:17], v[8:9] op_sel:[0,0,1] op_sel_hi:[1,1,0]
	v_pk_fma_f32 v[8:9], v[76:77], v[16:17], v[8:9] op_sel:[0,0,1] op_sel_hi:[1,1,0] neg_lo:[0,0,1] neg_hi:[0,0,1]
	s_mov_b32 s4, 0x3df6dbef
	v_mov_b32_e32 v41, v9
	v_pk_mul_f32 v[8:9], v[56:57], v[18:19]
	s_mov_b32 s10, 0xbf6f5d39
	v_pk_fma_f32 v[42:43], v[74:75], v[18:19], v[8:9] op_sel:[0,0,1] op_sel_hi:[1,1,0]
	v_pk_fma_f32 v[8:9], v[74:75], v[18:19], v[8:9] op_sel:[0,0,1] op_sel_hi:[1,1,0] neg_lo:[0,0,1] neg_hi:[0,0,1]
	s_waitcnt lgkmcnt(2)
	v_pk_mul_f32 v[18:19], v[36:37], v[2:3] op_sel:[1,0]
	v_mov_b32_e32 v43, v9
	s_waitcnt lgkmcnt(1)
	v_pk_mul_f32 v[8:9], v[58:59], v[20:21]
	v_pk_add_f32 v[64:65], v[28:29], v[42:43] neg_lo:[0,1] neg_hi:[0,1]
	v_pk_fma_f32 v[14:15], v[72:73], v[20:21], v[8:9] op_sel:[0,0,1] op_sel_hi:[1,1,0]
	v_pk_fma_f32 v[8:9], v[72:73], v[20:21], v[8:9] op_sel:[0,0,1] op_sel_hi:[1,1,0] neg_lo:[0,0,1] neg_hi:[0,0,1]
	v_pk_fma_f32 v[20:21], v[36:37], v[2:3], v[18:19] op_sel:[0,0,1] op_sel_hi:[1,1,0]
	v_mov_b32_e32 v15, v9
	v_pk_mul_f32 v[8:9], v[52:53], v[22:23]
	v_pk_fma_f32 v[2:3], v[36:37], v[2:3], v[18:19] op_sel:[0,0,1] op_sel_hi:[0,1,0] neg_lo:[0,0,1] neg_hi:[0,0,1]
	v_pk_fma_f32 v[12:13], v[70:71], v[22:23], v[8:9] op_sel:[0,0,1] op_sel_hi:[1,1,0]
	v_pk_fma_f32 v[8:9], v[70:71], v[22:23], v[8:9] op_sel:[0,0,1] op_sel_hi:[1,1,0] neg_lo:[0,0,1] neg_hi:[0,0,1]
	v_mov_b32_e32 v21, v3
	v_mov_b32_e32 v13, v9
	s_waitcnt lgkmcnt(0)
	v_pk_mul_f32 v[8:9], v[54:55], v[24:25]
	v_pk_add_f32 v[58:59], v[28:29], v[42:43]
	v_pk_fma_f32 v[16:17], v[68:69], v[24:25], v[8:9] op_sel:[0,0,1] op_sel_hi:[1,1,0]
	v_pk_fma_f32 v[8:9], v[68:69], v[24:25], v[8:9] op_sel:[0,0,1] op_sel_hi:[1,1,0] neg_lo:[0,0,1] neg_hi:[0,0,1]
	s_mov_b32 s6, 0xbeb58ec6
	v_mov_b32_e32 v17, v9
	ds_read2_b64 v[8:11], v85 offset0:56 offset1:212
	v_pk_add_f32 v[48:49], v[20:21], v[16:17] neg_lo:[0,1] neg_hi:[0,1]
	v_pk_add_f32 v[46:47], v[20:21], v[16:17]
	v_pk_add_f32 v[68:69], v[26:27], v[40:41] neg_lo:[0,1] neg_hi:[0,1]
	s_mov_b32 s14, 0xbf29c268
	s_waitcnt lgkmcnt(0)
	v_pk_mul_f32 v[2:3], v[38:39], v[8:9] op_sel:[1,0]
	v_mov_b32_e32 v4, s12
	v_pk_fma_f32 v[18:19], v[38:39], v[8:9], v[2:3] op_sel:[0,0,1] op_sel_hi:[1,1,0]
	v_pk_fma_f32 v[2:3], v[38:39], v[8:9], v[2:3] op_sel:[0,0,1] op_sel_hi:[0,1,0] neg_lo:[0,0,1] neg_hi:[0,0,1]
	v_mov_b32_e32 v19, v3
	v_pk_mul_f32 v[2:3], v[32:33], v[10:11] op_sel:[1,0]
	v_pk_mul_f32 v[8:9], v[48:49], s[2:3] op_sel_hi:[1,0]
	v_pk_fma_f32 v[22:23], v[32:33], v[10:11], v[2:3] op_sel:[0,0,1] op_sel_hi:[1,1,0]
	v_pk_fma_f32 v[2:3], v[32:33], v[10:11], v[2:3] op_sel:[0,0,1] op_sel_hi:[0,1,0] neg_lo:[0,0,1] neg_hi:[0,0,1]
	v_mov_b32_e32 v23, v3
	v_pk_add_f32 v[2:3], v[0:1], v[20:21]
	v_pk_add_f32 v[52:53], v[18:19], v[12:13] neg_lo:[0,1] neg_hi:[0,1]
	v_pk_add_f32 v[2:3], v[2:3], v[18:19]
	v_pk_add_f32 v[50:51], v[18:19], v[12:13]
	;; [unrolled: 1-line block ×3, first 2 shown]
	s_mov_b32 s2, 0x3f116cb1
	v_pk_add_f32 v[2:3], v[2:3], v[28:29]
	v_pk_add_f32 v[56:57], v[22:23], v[14:15] neg_lo:[0,1] neg_hi:[0,1]
	v_pk_add_f32 v[2:3], v[2:3], v[26:27]
	v_pk_add_f32 v[54:55], v[22:23], v[14:15]
	;; [unrolled: 1-line block ×5, first 2 shown]
	s_mov_b32 s12, 0xbf3f9e67
	v_pk_add_f32 v[2:3], v[2:3], v[40:41]
	v_pk_add_f32 v[72:73], v[30:31], v[34:35] neg_lo:[0,1] neg_hi:[0,1]
	v_pk_add_f32 v[2:3], v[2:3], v[42:43]
	s_mov_b32 s20, 0xbe750f2a
	v_pk_add_f32 v[2:3], v[2:3], v[14:15]
	v_pk_add_f32 v[70:71], v[30:31], v[34:35]
	;; [unrolled: 1-line block ×3, first 2 shown]
	v_pk_mul_f32 v[12:13], v[52:53], s[16:17] op_sel_hi:[1,0]
	v_pk_add_f32 v[32:33], v[2:3], v[16:17]
	v_pk_fma_f32 v[2:3], v[46:47], s[0:1], v[8:9] op_sel:[0,0,1] op_sel_hi:[1,0,0]
	v_pk_fma_f32 v[8:9], v[46:47], s[0:1], v[8:9] op_sel:[0,0,1] op_sel_hi:[1,0,0] neg_lo:[0,0,1] neg_hi:[0,0,1]
	v_mov_b32_e32 v10, v2
	v_mov_b32_e32 v11, v9
	v_pk_add_f32 v[16:17], v[0:1], v[10:11]
	v_pk_fma_f32 v[10:11], v[50:51], s[2:3], v[12:13] op_sel:[0,0,1] op_sel_hi:[1,0,0]
	v_pk_fma_f32 v[12:13], v[50:51], s[2:3], v[12:13] op_sel:[0,0,1] op_sel_hi:[1,0,0] neg_lo:[0,0,1] neg_hi:[0,0,1]
	v_mov_b32_e32 v18, v10
	v_mov_b32_e32 v19, v13
	v_pk_add_f32 v[18:19], v[18:19], v[16:17]
	v_pk_mul_f32 v[16:17], v[56:57], s[24:25] op_sel_hi:[1,0]
	s_mov_b32 s18, 0xbf788fa5
	v_pk_fma_f32 v[14:15], v[54:55], s[4:5], v[16:17] op_sel:[0,0,1] op_sel_hi:[1,0,0]
	v_pk_fma_f32 v[16:17], v[54:55], s[4:5], v[16:17] op_sel:[0,0,1] op_sel_hi:[1,0,0] neg_lo:[0,0,1] neg_hi:[0,0,1]
	v_mov_b32_e32 v20, v14
	v_mov_b32_e32 v21, v17
	v_pk_add_f32 v[22:23], v[20:21], v[18:19]
	v_pk_mul_f32 v[20:21], v[64:65], s[10:11] op_sel_hi:[1,0]
	s_mov_b32 s28, 0x3f29c268
	;; [unrolled: 7-line block ×4, first 2 shown]
	v_pk_fma_f32 v[26:27], v[70:71], s[18:19], v[28:29] op_sel:[0,0,1] op_sel_hi:[1,0,0]
	v_pk_fma_f32 v[28:29], v[70:71], s[18:19], v[28:29] op_sel:[0,0,1] op_sel_hi:[1,0,0] neg_lo:[0,0,1] neg_hi:[0,0,1]
	v_mov_b32_e32 v30, v26
	v_mov_b32_e32 v31, v29
	v_pk_add_f32 v[30:31], v[30:31], v[36:37]
	ds_write2_b64 v84, v[32:33], v[30:31] offset1:156
	v_pk_mul_f32 v[32:33], v[48:49], s[16:17] op_sel_hi:[1,0]
	v_pk_mul_f32 v[36:37], v[52:53], s[10:11] op_sel_hi:[1,0]
	v_pk_fma_f32 v[30:31], v[46:47], s[2:3], v[32:33] op_sel:[0,0,1] op_sel_hi:[1,0,0]
	v_pk_fma_f32 v[32:33], v[46:47], s[2:3], v[32:33] op_sel:[0,0,1] op_sel_hi:[1,0,0] neg_lo:[0,0,1] neg_hi:[0,0,1]
	v_mov_b32_e32 v34, v30
	v_mov_b32_e32 v35, v33
	v_pk_add_f32 v[38:39], v[0:1], v[34:35]
	v_pk_fma_f32 v[34:35], v[50:51], s[6:7], v[36:37] op_sel:[0,0,1] op_sel_hi:[1,0,0]
	v_pk_fma_f32 v[36:37], v[50:51], s[6:7], v[36:37] op_sel:[0,0,1] op_sel_hi:[1,0,0] neg_lo:[0,0,1] neg_hi:[0,0,1]
	v_mov_b32_e32 v40, v34
	v_mov_b32_e32 v41, v37
	v_pk_add_f32 v[42:43], v[40:41], v[38:39]
	v_pk_mul_f32 v[40:41], v[56:57], s[20:21] op_sel_hi:[1,0]
	v_pk_mul_f32 v[94:95], v[52:53], s[20:21] op_sel_hi:[1,0]
	v_pk_fma_f32 v[38:39], v[54:55], s[18:19], v[40:41] op_sel:[0,0,1] op_sel_hi:[1,0,0]
	v_pk_fma_f32 v[40:41], v[54:55], s[18:19], v[40:41] op_sel:[0,0,1] op_sel_hi:[1,0,0] neg_lo:[0,0,1] neg_hi:[0,0,1]
	v_mov_b32_e32 v44, v38
	v_mov_b32_e32 v45, v41
	v_pk_add_f32 v[74:75], v[44:45], v[42:43]
	v_pk_mul_f32 v[44:45], v[64:65], s[28:29] op_sel_hi:[1,0]
	v_pk_fma_f32 v[96:97], v[50:51], s[18:19], v[94:95] op_sel:[0,0,1] op_sel_hi:[1,0,0]
	v_pk_fma_f32 v[42:43], v[58:59], s[12:13], v[44:45] op_sel:[0,0,1] op_sel_hi:[1,0,0]
	v_pk_fma_f32 v[44:45], v[58:59], s[12:13], v[44:45] op_sel:[0,0,1] op_sel_hi:[1,0,0] neg_lo:[0,0,1] neg_hi:[0,0,1]
	v_mov_b32_e32 v76, v42
	v_mov_b32_e32 v77, v45
	v_pk_add_f32 v[74:75], v[76:77], v[74:75]
	v_pk_mul_f32 v[76:77], v[68:69], s[22:23] op_sel_hi:[1,0]
	v_pk_fma_f32 v[94:95], v[50:51], s[18:19], v[94:95] op_sel:[0,0,1] op_sel_hi:[1,0,0] neg_lo:[0,0,1] neg_hi:[0,0,1]
	v_pk_fma_f32 v[78:79], v[66:67], s[4:5], v[76:77] op_sel:[0,0,1] op_sel_hi:[1,0,0]
	v_pk_fma_f32 v[76:77], v[66:67], s[4:5], v[76:77] op_sel:[0,0,1] op_sel_hi:[1,0,0] neg_lo:[0,0,1] neg_hi:[0,0,1]
	v_mov_b32_e32 v80, v78
	v_mov_b32_e32 v81, v77
	v_pk_add_f32 v[74:75], v[80:81], v[74:75]
	v_pk_mul_f32 v[80:81], v[72:73], s[26:27] op_sel_hi:[1,0]
	v_mov_b32_e32 v100, v96
	v_pk_fma_f32 v[82:83], v[70:71], s[0:1], v[80:81] op_sel:[0,0,1] op_sel_hi:[1,0,0]
	v_pk_fma_f32 v[80:81], v[70:71], s[0:1], v[80:81] op_sel:[0,0,1] op_sel_hi:[1,0,0] neg_lo:[0,0,1] neg_hi:[0,0,1]
	v_mov_b32_e32 v86, v82
	v_mov_b32_e32 v87, v81
	v_pk_add_f32 v[74:75], v[86:87], v[74:75]
	v_pk_mul_f32 v[86:87], v[48:49], s[24:25] op_sel_hi:[1,0]
	v_mov_b32_e32 v101, v95
	v_pk_fma_f32 v[90:91], v[46:47], s[4:5], v[86:87] op_sel:[0,0,1] op_sel_hi:[1,0,0]
	v_pk_fma_f32 v[86:87], v[46:47], s[4:5], v[86:87] op_sel:[0,0,1] op_sel_hi:[1,0,0] neg_lo:[0,0,1] neg_hi:[0,0,1]
	v_mov_b32_e32 v92, v90
	v_mov_b32_e32 v93, v87
	v_pk_add_f32 v[92:93], v[0:1], v[92:93]
	s_mov_b32 s30, 0x3f6f5d39
	v_pk_add_f32 v[92:93], v[100:101], v[92:93]
	v_pk_mul_f32 v[100:101], v[56:57], s[30:31] op_sel_hi:[1,0]
	v_pk_mul_f32 v[124:125], v[52:53], s[28:29] op_sel_hi:[1,0]
	v_pk_fma_f32 v[102:103], v[54:55], s[6:7], v[100:101] op_sel:[0,0,1] op_sel_hi:[1,0,0]
	v_pk_fma_f32 v[100:101], v[54:55], s[6:7], v[100:101] op_sel:[0,0,1] op_sel_hi:[1,0,0] neg_lo:[0,0,1] neg_hi:[0,0,1]
	v_mov_b32_e32 v104, v102
	v_mov_b32_e32 v105, v101
	v_pk_add_f32 v[92:93], v[104:105], v[92:93]
	v_pk_mul_f32 v[104:105], v[64:65], s[26:27] op_sel_hi:[1,0]
	v_pk_fma_f32 v[126:127], v[50:51], s[12:13], v[124:125] op_sel:[0,0,1] op_sel_hi:[1,0,0]
	v_pk_fma_f32 v[106:107], v[58:59], s[0:1], v[104:105] op_sel:[0,0,1] op_sel_hi:[1,0,0]
	v_pk_fma_f32 v[104:105], v[58:59], s[0:1], v[104:105] op_sel:[0,0,1] op_sel_hi:[1,0,0] neg_lo:[0,0,1] neg_hi:[0,0,1]
	v_mov_b32_e32 v108, v106
	v_mov_b32_e32 v109, v105
	v_pk_add_f32 v[92:93], v[108:109], v[92:93]
	v_pk_mul_f32 v[108:109], v[68:69], s[16:17] op_sel_hi:[1,0]
	v_pk_fma_f32 v[124:125], v[50:51], s[12:13], v[124:125] op_sel:[0,0,1] op_sel_hi:[1,0,0] neg_lo:[0,0,1] neg_hi:[0,0,1]
	v_pk_fma_f32 v[116:117], v[66:67], s[2:3], v[108:109] op_sel:[0,0,1] op_sel_hi:[1,0,0]
	v_pk_fma_f32 v[108:109], v[66:67], s[2:3], v[108:109] op_sel:[0,0,1] op_sel_hi:[1,0,0] neg_lo:[0,0,1] neg_hi:[0,0,1]
	v_mov_b32_e32 v118, v116
	v_mov_b32_e32 v119, v109
	v_pk_add_f32 v[92:93], v[118:119], v[92:93]
	v_pk_mul_f32 v[118:119], v[72:73], s[14:15] op_sel_hi:[1,0]
	v_mov_b32_e32 v128, v126
	v_pk_fma_f32 v[120:121], v[70:71], s[12:13], v[118:119] op_sel:[0,0,1] op_sel_hi:[1,0,0]
	v_pk_fma_f32 v[118:119], v[70:71], s[12:13], v[118:119] op_sel:[0,0,1] op_sel_hi:[1,0,0] neg_lo:[0,0,1] neg_hi:[0,0,1]
	v_mov_b32_e32 v122, v120
	v_mov_b32_e32 v123, v119
	v_pk_add_f32 v[92:93], v[122:123], v[92:93]
	ds_write2_b64 v85, v[74:75], v[92:93] offset0:56 offset1:212
	v_pk_mul_f32 v[74:75], v[48:49], s[10:11] op_sel_hi:[1,0]
	v_mov_b32_e32 v129, v125
	v_pk_fma_f32 v[92:93], v[46:47], s[6:7], v[74:75] op_sel:[0,0,1] op_sel_hi:[1,0,0]
	v_pk_fma_f32 v[74:75], v[46:47], s[6:7], v[74:75] op_sel:[0,0,1] op_sel_hi:[1,0,0] neg_lo:[0,0,1] neg_hi:[0,0,1]
	v_mov_b32_e32 v122, v92
	v_mov_b32_e32 v123, v75
	v_pk_add_f32 v[122:123], v[0:1], v[122:123]
	s_mov_b32 s28, 0x3f52af12
	v_pk_add_f32 v[122:123], v[128:129], v[122:123]
	v_pk_mul_f32 v[128:129], v[56:57], s[26:27] op_sel_hi:[1,0]
	v_pk_mul_f32 v[150:151], v[52:53], s[22:23] op_sel_hi:[1,0]
	v_pk_fma_f32 v[130:131], v[54:55], s[0:1], v[128:129] op_sel:[0,0,1] op_sel_hi:[1,0,0]
	v_pk_fma_f32 v[128:129], v[54:55], s[0:1], v[128:129] op_sel:[0,0,1] op_sel_hi:[1,0,0] neg_lo:[0,0,1] neg_hi:[0,0,1]
	v_mov_b32_e32 v132, v130
	v_mov_b32_e32 v133, v129
	v_pk_add_f32 v[122:123], v[132:133], v[122:123]
	v_pk_mul_f32 v[132:133], v[64:65], s[24:25] op_sel_hi:[1,0]
	s_mov_b32 s24, 0x3e750f2a
	v_pk_fma_f32 v[134:135], v[58:59], s[4:5], v[132:133] op_sel:[0,0,1] op_sel_hi:[1,0,0]
	v_pk_fma_f32 v[132:133], v[58:59], s[4:5], v[132:133] op_sel:[0,0,1] op_sel_hi:[1,0,0] neg_lo:[0,0,1] neg_hi:[0,0,1]
	v_mov_b32_e32 v136, v134
	v_mov_b32_e32 v137, v133
	v_pk_add_f32 v[122:123], v[136:137], v[122:123]
	v_pk_mul_f32 v[136:137], v[68:69], s[24:25] op_sel_hi:[1,0]
	v_pk_fma_f32 v[152:153], v[50:51], s[4:5], v[150:151] op_sel:[0,0,1] op_sel_hi:[1,0,0]
	v_pk_fma_f32 v[138:139], v[66:67], s[18:19], v[136:137] op_sel:[0,0,1] op_sel_hi:[1,0,0]
	v_pk_fma_f32 v[136:137], v[66:67], s[18:19], v[136:137] op_sel:[0,0,1] op_sel_hi:[1,0,0] neg_lo:[0,0,1] neg_hi:[0,0,1]
	v_mov_b32_e32 v140, v138
	v_mov_b32_e32 v141, v137
	v_pk_add_f32 v[122:123], v[140:141], v[122:123]
	v_pk_mul_f32 v[140:141], v[72:73], s[28:29] op_sel_hi:[1,0]
	v_pk_fma_f32 v[150:151], v[50:51], s[4:5], v[150:151] op_sel:[0,0,1] op_sel_hi:[1,0,0] neg_lo:[0,0,1] neg_hi:[0,0,1]
	v_pk_fma_f32 v[142:143], v[70:71], s[2:3], v[140:141] op_sel:[0,0,1] op_sel_hi:[1,0,0]
	v_pk_fma_f32 v[140:141], v[70:71], s[2:3], v[140:141] op_sel:[0,0,1] op_sel_hi:[1,0,0] neg_lo:[0,0,1] neg_hi:[0,0,1]
	v_mov_b32_e32 v144, v142
	v_mov_b32_e32 v145, v141
	v_pk_add_f32 v[122:123], v[144:145], v[122:123]
	v_pk_mul_f32 v[144:145], v[48:49], s[14:15] op_sel_hi:[1,0]
	v_mov_b32_e32 v154, v152
	v_pk_fma_f32 v[146:147], v[46:47], s[12:13], v[144:145] op_sel:[0,0,1] op_sel_hi:[1,0,0]
	v_pk_fma_f32 v[144:145], v[46:47], s[12:13], v[144:145] op_sel:[0,0,1] op_sel_hi:[1,0,0] neg_lo:[0,0,1] neg_hi:[0,0,1]
	v_mov_b32_e32 v148, v146
	v_mov_b32_e32 v149, v145
	v_pk_add_f32 v[148:149], v[0:1], v[148:149]
	v_mov_b32_e32 v155, v151
	v_pk_add_f32 v[148:149], v[154:155], v[148:149]
	v_pk_mul_f32 v[154:155], v[56:57], s[16:17] op_sel_hi:[1,0]
	v_pk_mul_f32 v[48:49], v[48:49], s[20:21] op_sel_hi:[1,0]
	v_pk_fma_f32 v[156:157], v[54:55], s[2:3], v[154:155] op_sel:[0,0,1] op_sel_hi:[1,0,0]
	v_pk_fma_f32 v[154:155], v[54:55], s[2:3], v[154:155] op_sel:[0,0,1] op_sel_hi:[1,0,0] neg_lo:[0,0,1] neg_hi:[0,0,1]
	v_mov_b32_e32 v158, v156
	v_mov_b32_e32 v159, v155
	v_pk_add_f32 v[148:149], v[158:159], v[148:149]
	v_pk_mul_f32 v[158:159], v[64:65], s[24:25] op_sel_hi:[1,0]
	v_pk_mul_f32 v[52:53], v[52:53], s[26:27] op_sel_hi:[1,0]
	v_pk_fma_f32 v[160:161], v[58:59], s[18:19], v[158:159] op_sel:[0,0,1] op_sel_hi:[1,0,0]
	v_pk_fma_f32 v[158:159], v[58:59], s[18:19], v[158:159] op_sel:[0,0,1] op_sel_hi:[1,0,0] neg_lo:[0,0,1] neg_hi:[0,0,1]
	v_mov_b32_e32 v162, v160
	v_mov_b32_e32 v163, v159
	v_pk_add_f32 v[148:149], v[162:163], v[148:149]
	v_pk_mul_f32 v[162:163], v[68:69], s[26:27] op_sel_hi:[1,0]
	v_mov_b32_e32 v145, v147
	v_pk_fma_f32 v[164:165], v[66:67], s[0:1], v[162:163] op_sel:[0,0,1] op_sel_hi:[1,0,0]
	v_pk_fma_f32 v[162:163], v[66:67], s[0:1], v[162:163] op_sel:[0,0,1] op_sel_hi:[1,0,0] neg_lo:[0,0,1] neg_hi:[0,0,1]
	v_mov_b32_e32 v166, v164
	v_mov_b32_e32 v167, v163
	v_pk_add_f32 v[148:149], v[166:167], v[148:149]
	v_pk_mul_f32 v[166:167], v[72:73], s[10:11] op_sel_hi:[1,0]
	v_mov_b32_e32 v75, v93
	v_pk_fma_f32 v[168:169], v[70:71], s[6:7], v[166:167] op_sel:[0,0,1] op_sel_hi:[1,0,0]
	v_pk_fma_f32 v[166:167], v[70:71], s[6:7], v[166:167] op_sel:[0,0,1] op_sel_hi:[1,0,0] neg_lo:[0,0,1] neg_hi:[0,0,1]
	v_mov_b32_e32 v170, v168
	v_mov_b32_e32 v171, v167
	v_pk_add_f32 v[148:149], v[170:171], v[148:149]
	ds_write2_b64 v63, v[122:123], v[148:149] offset0:48 offset1:204
	v_pk_fma_f32 v[122:123], v[46:47], s[18:19], v[48:49] op_sel:[0,0,1] op_sel_hi:[1,0,0]
	v_pk_fma_f32 v[46:47], v[46:47], s[18:19], v[48:49] op_sel:[0,0,1] op_sel_hi:[1,0,0] neg_lo:[0,0,1] neg_hi:[0,0,1]
	v_mov_b32_e32 v48, v122
	v_mov_b32_e32 v49, v47
	v_pk_fma_f32 v[148:149], v[50:51], s[0:1], v[52:53] op_sel:[0,0,1] op_sel_hi:[1,0,0]
	v_pk_fma_f32 v[50:51], v[50:51], s[0:1], v[52:53] op_sel:[0,0,1] op_sel_hi:[1,0,0] neg_lo:[0,0,1] neg_hi:[0,0,1]
	v_pk_add_f32 v[48:49], v[0:1], v[48:49]
	v_mov_b32_e32 v52, v148
	v_mov_b32_e32 v53, v51
	v_pk_add_f32 v[48:49], v[52:53], v[48:49]
	v_pk_mul_f32 v[52:53], v[56:57], s[14:15] op_sel_hi:[1,0]
	v_mov_b32_e32 v47, v123
	v_pk_fma_f32 v[56:57], v[54:55], s[12:13], v[52:53] op_sel:[0,0,1] op_sel_hi:[1,0,0]
	v_pk_fma_f32 v[52:53], v[54:55], s[12:13], v[52:53] op_sel:[0,0,1] op_sel_hi:[1,0,0] neg_lo:[0,0,1] neg_hi:[0,0,1]
	v_mov_b32_e32 v54, v56
	v_mov_b32_e32 v55, v53
	v_pk_add_f32 v[48:49], v[54:55], v[48:49]
	v_pk_mul_f32 v[54:55], v[64:65], s[28:29] op_sel_hi:[1,0]
	v_pk_add_f32 v[46:47], v[0:1], v[46:47]
	v_pk_fma_f32 v[64:65], v[58:59], s[2:3], v[54:55] op_sel:[0,0,1] op_sel_hi:[1,0,0]
	v_pk_fma_f32 v[54:55], v[58:59], s[2:3], v[54:55] op_sel:[0,0,1] op_sel_hi:[1,0,0] neg_lo:[0,0,1] neg_hi:[0,0,1]
	v_mov_b32_e32 v58, v64
	v_mov_b32_e32 v59, v55
	v_pk_add_f32 v[48:49], v[58:59], v[48:49]
	v_pk_mul_f32 v[58:59], v[68:69], s[10:11] op_sel_hi:[1,0]
	v_mov_b32_e32 v51, v149
	v_pk_fma_f32 v[68:69], v[66:67], s[6:7], v[58:59] op_sel:[0,0,1] op_sel_hi:[1,0,0]
	v_pk_fma_f32 v[58:59], v[66:67], s[6:7], v[58:59] op_sel:[0,0,1] op_sel_hi:[1,0,0] neg_lo:[0,0,1] neg_hi:[0,0,1]
	v_mov_b32_e32 v66, v68
	v_mov_b32_e32 v67, v59
	v_pk_add_f32 v[46:47], v[50:51], v[46:47]
	v_mov_b32_e32 v53, v57
	v_pk_add_f32 v[48:49], v[66:67], v[48:49]
	v_pk_mul_f32 v[66:67], v[72:73], s[22:23] op_sel_hi:[1,0]
	v_pk_add_f32 v[46:47], v[52:53], v[46:47]
	v_mov_b32_e32 v55, v65
	v_pk_fma_f32 v[72:73], v[70:71], s[4:5], v[66:67] op_sel:[0,0,1] op_sel_hi:[1,0,0]
	v_pk_fma_f32 v[66:67], v[70:71], s[4:5], v[66:67] op_sel:[0,0,1] op_sel_hi:[1,0,0] neg_lo:[0,0,1] neg_hi:[0,0,1]
	v_pk_add_f32 v[46:47], v[54:55], v[46:47]
	v_mov_b32_e32 v59, v69
	v_mov_b32_e32 v70, v72
	;; [unrolled: 1-line block ×3, first 2 shown]
	v_pk_add_f32 v[46:47], v[58:59], v[46:47]
	v_mov_b32_e32 v67, v73
	v_pk_add_f32 v[48:49], v[70:71], v[48:49]
	v_pk_add_f32 v[46:47], v[66:67], v[46:47]
	ds_write2_b64 v62, v[48:49], v[46:47] offset0:40 offset1:196
	v_pk_add_f32 v[46:47], v[0:1], v[144:145]
	v_mov_b32_e32 v151, v153
	v_pk_add_f32 v[48:49], v[0:1], v[74:75]
	v_mov_b32_e32 v125, v127
	;; [unrolled: 2-line block ×10, first 2 shown]
	v_pk_add_f32 v[46:47], v[166:167], v[46:47]
	v_pk_add_f32 v[48:49], v[140:141], v[48:49]
	v_mov_b32_e32 v87, v91
	v_mov_b32_e32 v33, v31
	;; [unrolled: 1-line block ×3, first 2 shown]
	ds_write2_b64 v61, v[46:47], v[48:49] offset0:96 offset1:252
	v_pk_add_f32 v[46:47], v[0:1], v[86:87]
	v_mov_b32_e32 v95, v97
	v_pk_add_f32 v[30:31], v[0:1], v[32:33]
	v_mov_b32_e32 v37, v35
	;; [unrolled: 2-line block ×15, first 2 shown]
	v_pk_add_f32 v[46:47], v[118:119], v[46:47]
	v_pk_add_f32 v[30:31], v[80:81], v[30:31]
	;; [unrolled: 1-line block ×3, first 2 shown]
	ds_write2_b64 v60, v[46:47], v[30:31] offset0:24 offset1:180
	ds_write_b64 v84, v[0:1] offset:14976
	s_waitcnt lgkmcnt(0)
	s_barrier
	ds_read2_b64 v[0:3], v84 offset1:156
	v_mov_b32_e32 v8, v7
	v_mad_u64_u32 v[8:9], s[0:1], s11, v98, v[8:9]
	v_mov_b32_e32 v7, v8
	s_waitcnt lgkmcnt(0)
	v_mul_f32_e32 v8, v115, v1
	v_fmac_f32_e32 v8, v114, v0
	v_mul_f32_e32 v0, v115, v0
	s_mov_b32 s0, 0xfc7729e9
	v_fma_f32 v0, v114, v1, -v0
	v_cvt_f64_f32_e32 v[8:9], v8
	s_mov_b32 s1, 0x3f402864
	v_cvt_f64_f32_e32 v[0:1], v0
	v_mul_f64 v[8:9], v[8:9], s[0:1]
	v_mul_f64 v[0:1], v[0:1], s[0:1]
	v_cvt_f32_f64_e32 v8, v[8:9]
	v_cvt_f32_f64_e32 v9, v[0:1]
	v_mad_u64_u32 v[0:1], s[2:3], s8, v88, 0
	v_mov_b32_e32 v10, v1
	v_mov_b32_e32 v5, s13
	v_mad_u64_u32 v[10:11], s[2:3], s9, v88, v[10:11]
	v_mov_b32_e32 v1, v10
	v_lshl_add_u64 v[4:5], v[6:7], 3, v[4:5]
	v_lshl_add_u64 v[4:5], v[0:1], 3, v[4:5]
	v_mul_f32_e32 v0, v113, v3
	v_fmac_f32_e32 v0, v112, v2
	v_cvt_f64_f32_e32 v[0:1], v0
	v_mul_f64 v[0:1], v[0:1], s[0:1]
	v_cvt_f32_f64_e32 v6, v[0:1]
	v_mul_f32_e32 v0, v113, v2
	v_fma_f32 v0, v112, v3, -v0
	v_cvt_f64_f32_e32 v[0:1], v0
	v_mul_f64 v[0:1], v[0:1], s[0:1]
	v_cvt_f32_f64_e32 v7, v[0:1]
	ds_read2_b64 v[0:3], v85 offset0:56 offset1:212
	global_store_dwordx2 v[4:5], v[8:9], off
	v_mov_b32_e32 v8, 0x4e0
	v_mad_u64_u32 v[4:5], s[2:3], s8, v8, v[4:5]
	s_mul_i32 s2, s9, 0x4e0
	v_accvgpr_read_b32 v10, a18
	v_add_u32_e32 v5, s2, v5
	v_accvgpr_read_b32 v11, a19
	global_store_dwordx2 v[4:5], v[6:7], off
	s_waitcnt lgkmcnt(0)
	v_mul_f32_e32 v6, v11, v1
	v_fmac_f32_e32 v6, v10, v0
	v_mul_f32_e32 v0, v11, v0
	v_fma_f32 v0, v10, v1, -v0
	v_cvt_f64_f32_e32 v[6:7], v6
	v_cvt_f64_f32_e32 v[0:1], v0
	v_accvgpr_read_b32 v10, a14
	v_mul_f64 v[6:7], v[6:7], s[0:1]
	v_mul_f64 v[0:1], v[0:1], s[0:1]
	v_accvgpr_read_b32 v11, a15
	v_cvt_f32_f64_e32 v6, v[6:7]
	v_cvt_f32_f64_e32 v7, v[0:1]
	v_mul_f32_e32 v0, v11, v3
	v_fmac_f32_e32 v0, v10, v2
	v_mad_u64_u32 v[4:5], s[4:5], s8, v8, v[4:5]
	v_cvt_f64_f32_e32 v[0:1], v0
	v_add_u32_e32 v5, s2, v5
	v_mul_f64 v[0:1], v[0:1], s[0:1]
	global_store_dwordx2 v[4:5], v[6:7], off
	v_cvt_f32_f64_e32 v6, v[0:1]
	v_mul_f32_e32 v0, v11, v2
	v_fma_f32 v0, v10, v3, -v0
	v_cvt_f64_f32_e32 v[0:1], v0
	v_mul_f64 v[0:1], v[0:1], s[0:1]
	v_cvt_f32_f64_e32 v7, v[0:1]
	ds_read2_b64 v[0:3], v63 offset0:48 offset1:204
	v_mad_u64_u32 v[4:5], s[4:5], s8, v8, v[4:5]
	v_add_u32_e32 v5, s2, v5
	global_store_dwordx2 v[4:5], v[6:7], off
	s_waitcnt lgkmcnt(0)
	v_mul_f32_e32 v6, v111, v1
	v_fmac_f32_e32 v6, v110, v0
	v_mul_f32_e32 v0, v111, v0
	v_fma_f32 v0, v110, v1, -v0
	v_cvt_f64_f32_e32 v[6:7], v6
	v_cvt_f64_f32_e32 v[0:1], v0
	v_accvgpr_read_b32 v10, a12
	v_mul_f64 v[6:7], v[6:7], s[0:1]
	v_mul_f64 v[0:1], v[0:1], s[0:1]
	v_accvgpr_read_b32 v11, a13
	v_cvt_f32_f64_e32 v6, v[6:7]
	v_cvt_f32_f64_e32 v7, v[0:1]
	v_mul_f32_e32 v0, v11, v3
	v_fmac_f32_e32 v0, v10, v2
	v_mad_u64_u32 v[4:5], s[4:5], s8, v8, v[4:5]
	v_cvt_f64_f32_e32 v[0:1], v0
	v_add_u32_e32 v5, s2, v5
	v_mul_f64 v[0:1], v[0:1], s[0:1]
	global_store_dwordx2 v[4:5], v[6:7], off
	v_cvt_f32_f64_e32 v6, v[0:1]
	v_mul_f32_e32 v0, v11, v2
	v_fma_f32 v0, v10, v3, -v0
	v_cvt_f64_f32_e32 v[0:1], v0
	v_mul_f64 v[0:1], v[0:1], s[0:1]
	v_cvt_f32_f64_e32 v7, v[0:1]
	ds_read2_b64 v[0:3], v62 offset0:40 offset1:196
	v_mad_u64_u32 v[4:5], s[4:5], s8, v8, v[4:5]
	v_accvgpr_read_b32 v10, a16
	v_add_u32_e32 v5, s2, v5
	v_accvgpr_read_b32 v11, a17
	global_store_dwordx2 v[4:5], v[6:7], off
	s_waitcnt lgkmcnt(0)
	v_mul_f32_e32 v6, v11, v1
	v_fmac_f32_e32 v6, v10, v0
	v_mul_f32_e32 v0, v11, v0
	v_fma_f32 v0, v10, v1, -v0
	v_cvt_f64_f32_e32 v[6:7], v6
	v_cvt_f64_f32_e32 v[0:1], v0
	v_mul_f64 v[6:7], v[6:7], s[0:1]
	v_mul_f64 v[0:1], v[0:1], s[0:1]
	v_accvgpr_read_b32 v11, a9
	v_cvt_f32_f64_e32 v6, v[6:7]
	v_cvt_f32_f64_e32 v7, v[0:1]
	v_accvgpr_read_b32 v10, a8
	v_mul_f32_e32 v0, v11, v3
	v_fmac_f32_e32 v0, v10, v2
	v_mad_u64_u32 v[4:5], s[4:5], s8, v8, v[4:5]
	v_cvt_f64_f32_e32 v[0:1], v0
	v_add_u32_e32 v5, s2, v5
	v_mul_f64 v[0:1], v[0:1], s[0:1]
	global_store_dwordx2 v[4:5], v[6:7], off
	v_cvt_f32_f64_e32 v6, v[0:1]
	v_mul_f32_e32 v0, v11, v2
	v_fma_f32 v0, v10, v3, -v0
	v_cvt_f64_f32_e32 v[0:1], v0
	v_mul_f64 v[0:1], v[0:1], s[0:1]
	v_cvt_f32_f64_e32 v7, v[0:1]
	ds_read2_b64 v[0:3], v61 offset0:96 offset1:252
	v_mad_u64_u32 v[4:5], s[4:5], s8, v8, v[4:5]
	v_accvgpr_read_b32 v10, a10
	v_add_u32_e32 v5, s2, v5
	v_accvgpr_read_b32 v11, a11
	global_store_dwordx2 v[4:5], v[6:7], off
	s_waitcnt lgkmcnt(0)
	v_mul_f32_e32 v6, v11, v1
	v_fmac_f32_e32 v6, v10, v0
	v_mul_f32_e32 v0, v11, v0
	v_fma_f32 v0, v10, v1, -v0
	v_cvt_f64_f32_e32 v[6:7], v6
	v_cvt_f64_f32_e32 v[0:1], v0
	v_mul_f64 v[6:7], v[6:7], s[0:1]
	v_mul_f64 v[0:1], v[0:1], s[0:1]
	v_accvgpr_read_b32 v11, a7
	v_cvt_f32_f64_e32 v6, v[6:7]
	v_cvt_f32_f64_e32 v7, v[0:1]
	v_accvgpr_read_b32 v10, a6
	v_mul_f32_e32 v0, v11, v3
	v_fmac_f32_e32 v0, v10, v2
	v_mad_u64_u32 v[4:5], s[4:5], s8, v8, v[4:5]
	v_cvt_f64_f32_e32 v[0:1], v0
	v_add_u32_e32 v5, s2, v5
	v_mul_f64 v[0:1], v[0:1], s[0:1]
	global_store_dwordx2 v[4:5], v[6:7], off
	v_cvt_f32_f64_e32 v6, v[0:1]
	v_mul_f32_e32 v0, v11, v2
	v_fma_f32 v0, v10, v3, -v0
	v_cvt_f64_f32_e32 v[0:1], v0
	v_mul_f64 v[0:1], v[0:1], s[0:1]
	v_cvt_f32_f64_e32 v7, v[0:1]
	ds_read2_b64 v[0:3], v60 offset0:24 offset1:180
	v_mad_u64_u32 v[4:5], s[4:5], s8, v8, v[4:5]
	v_add_u32_e32 v5, s2, v5
	v_accvgpr_read_b32 v11, a5
	global_store_dwordx2 v[4:5], v[6:7], off
	v_accvgpr_read_b32 v10, a4
	s_waitcnt lgkmcnt(0)
	v_mul_f32_e32 v6, v11, v1
	v_fmac_f32_e32 v6, v10, v0
	v_mul_f32_e32 v0, v11, v0
	v_fma_f32 v0, v10, v1, -v0
	v_cvt_f64_f32_e32 v[6:7], v6
	v_cvt_f64_f32_e32 v[0:1], v0
	v_mul_f64 v[6:7], v[6:7], s[0:1]
	v_mul_f64 v[0:1], v[0:1], s[0:1]
	v_cvt_f32_f64_e32 v6, v[6:7]
	v_cvt_f32_f64_e32 v7, v[0:1]
	v_mad_u64_u32 v[0:1], s[4:5], s8, v8, v[4:5]
	v_add_u32_e32 v1, s2, v1
	global_store_dwordx2 v[0:1], v[6:7], off
	v_accvgpr_read_b32 v7, a3
	v_accvgpr_read_b32 v6, a2
	v_mul_f32_e32 v4, v7, v3
	v_fmac_f32_e32 v4, v6, v2
	v_mul_f32_e32 v2, v7, v2
	v_fma_f32 v2, v6, v3, -v2
	v_cvt_f64_f32_e32 v[4:5], v4
	v_cvt_f64_f32_e32 v[2:3], v2
	v_mul_f64 v[4:5], v[4:5], s[0:1]
	v_mul_f64 v[2:3], v[2:3], s[0:1]
	v_cvt_f32_f64_e32 v4, v[4:5]
	v_cvt_f32_f64_e32 v5, v[2:3]
	ds_read_b64 v[2:3], v84 offset:14976
	v_mad_u64_u32 v[0:1], s[4:5], s8, v8, v[0:1]
	v_add_u32_e32 v1, s2, v1
	v_accvgpr_read_b32 v7, a1
	global_store_dwordx2 v[0:1], v[4:5], off
	v_accvgpr_read_b32 v6, a0
	s_waitcnt lgkmcnt(0)
	v_mul_f32_e32 v4, v7, v3
	v_fmac_f32_e32 v4, v6, v2
	v_mul_f32_e32 v2, v7, v2
	v_fma_f32 v2, v6, v3, -v2
	v_cvt_f64_f32_e32 v[4:5], v4
	v_cvt_f64_f32_e32 v[2:3], v2
	v_mul_f64 v[4:5], v[4:5], s[0:1]
	v_mul_f64 v[2:3], v[2:3], s[0:1]
	v_mad_u64_u32 v[0:1], s[0:1], s8, v8, v[0:1]
	v_cvt_f32_f64_e32 v4, v[4:5]
	v_cvt_f32_f64_e32 v5, v[2:3]
	v_add_u32_e32 v1, s2, v1
	global_store_dwordx2 v[0:1], v[4:5], off
.LBB0_20:
	s_endpgm
	.section	.rodata,"a",@progbits
	.p2align	6, 0x0
	.amdhsa_kernel bluestein_single_fwd_len2028_dim1_sp_op_CI_CI
		.amdhsa_group_segment_fixed_size 16224
		.amdhsa_private_segment_fixed_size 0
		.amdhsa_kernarg_size 104
		.amdhsa_user_sgpr_count 2
		.amdhsa_user_sgpr_dispatch_ptr 0
		.amdhsa_user_sgpr_queue_ptr 0
		.amdhsa_user_sgpr_kernarg_segment_ptr 1
		.amdhsa_user_sgpr_dispatch_id 0
		.amdhsa_user_sgpr_kernarg_preload_length 0
		.amdhsa_user_sgpr_kernarg_preload_offset 0
		.amdhsa_user_sgpr_private_segment_size 0
		.amdhsa_uses_dynamic_stack 0
		.amdhsa_enable_private_segment 0
		.amdhsa_system_sgpr_workgroup_id_x 1
		.amdhsa_system_sgpr_workgroup_id_y 0
		.amdhsa_system_sgpr_workgroup_id_z 0
		.amdhsa_system_sgpr_workgroup_info 0
		.amdhsa_system_vgpr_workitem_id 0
		.amdhsa_next_free_vgpr 283
		.amdhsa_next_free_sgpr 54
		.amdhsa_accum_offset 256
		.amdhsa_reserve_vcc 1
		.amdhsa_float_round_mode_32 0
		.amdhsa_float_round_mode_16_64 0
		.amdhsa_float_denorm_mode_32 3
		.amdhsa_float_denorm_mode_16_64 3
		.amdhsa_dx10_clamp 1
		.amdhsa_ieee_mode 1
		.amdhsa_fp16_overflow 0
		.amdhsa_tg_split 0
		.amdhsa_exception_fp_ieee_invalid_op 0
		.amdhsa_exception_fp_denorm_src 0
		.amdhsa_exception_fp_ieee_div_zero 0
		.amdhsa_exception_fp_ieee_overflow 0
		.amdhsa_exception_fp_ieee_underflow 0
		.amdhsa_exception_fp_ieee_inexact 0
		.amdhsa_exception_int_div_zero 0
	.end_amdhsa_kernel
	.text
.Lfunc_end0:
	.size	bluestein_single_fwd_len2028_dim1_sp_op_CI_CI, .Lfunc_end0-bluestein_single_fwd_len2028_dim1_sp_op_CI_CI
                                        ; -- End function
	.section	.AMDGPU.csdata,"",@progbits
; Kernel info:
; codeLenInByte = 18664
; NumSgprs: 60
; NumVgprs: 256
; NumAgprs: 27
; TotalNumVgprs: 283
; ScratchSize: 0
; MemoryBound: 0
; FloatMode: 240
; IeeeMode: 1
; LDSByteSize: 16224 bytes/workgroup (compile time only)
; SGPRBlocks: 7
; VGPRBlocks: 35
; NumSGPRsForWavesPerEU: 60
; NumVGPRsForWavesPerEU: 283
; AccumOffset: 256
; Occupancy: 1
; WaveLimiterHint : 1
; COMPUTE_PGM_RSRC2:SCRATCH_EN: 0
; COMPUTE_PGM_RSRC2:USER_SGPR: 2
; COMPUTE_PGM_RSRC2:TRAP_HANDLER: 0
; COMPUTE_PGM_RSRC2:TGID_X_EN: 1
; COMPUTE_PGM_RSRC2:TGID_Y_EN: 0
; COMPUTE_PGM_RSRC2:TGID_Z_EN: 0
; COMPUTE_PGM_RSRC2:TIDIG_COMP_CNT: 0
; COMPUTE_PGM_RSRC3_GFX90A:ACCUM_OFFSET: 63
; COMPUTE_PGM_RSRC3_GFX90A:TG_SPLIT: 0
	.text
	.p2alignl 6, 3212836864
	.fill 256, 4, 3212836864
	.type	__hip_cuid_b5a1b03d75c356fb,@object ; @__hip_cuid_b5a1b03d75c356fb
	.section	.bss,"aw",@nobits
	.globl	__hip_cuid_b5a1b03d75c356fb
__hip_cuid_b5a1b03d75c356fb:
	.byte	0                               ; 0x0
	.size	__hip_cuid_b5a1b03d75c356fb, 1

	.ident	"AMD clang version 19.0.0git (https://github.com/RadeonOpenCompute/llvm-project roc-6.4.0 25133 c7fe45cf4b819c5991fe208aaa96edf142730f1d)"
	.section	".note.GNU-stack","",@progbits
	.addrsig
	.addrsig_sym __hip_cuid_b5a1b03d75c356fb
	.amdgpu_metadata
---
amdhsa.kernels:
  - .agpr_count:     27
    .args:
      - .actual_access:  read_only
        .address_space:  global
        .offset:         0
        .size:           8
        .value_kind:     global_buffer
      - .actual_access:  read_only
        .address_space:  global
        .offset:         8
        .size:           8
        .value_kind:     global_buffer
      - .actual_access:  read_only
        .address_space:  global
        .offset:         16
        .size:           8
        .value_kind:     global_buffer
      - .actual_access:  read_only
        .address_space:  global
        .offset:         24
        .size:           8
        .value_kind:     global_buffer
      - .actual_access:  read_only
        .address_space:  global
        .offset:         32
        .size:           8
        .value_kind:     global_buffer
      - .offset:         40
        .size:           8
        .value_kind:     by_value
      - .address_space:  global
        .offset:         48
        .size:           8
        .value_kind:     global_buffer
      - .address_space:  global
        .offset:         56
        .size:           8
        .value_kind:     global_buffer
      - .address_space:  global
        .offset:         64
        .size:           8
        .value_kind:     global_buffer
      - .address_space:  global
        .offset:         72
        .size:           8
        .value_kind:     global_buffer
      - .offset:         80
        .size:           4
        .value_kind:     by_value
      - .address_space:  global
        .offset:         88
        .size:           8
        .value_kind:     global_buffer
      - .address_space:  global
        .offset:         96
        .size:           8
        .value_kind:     global_buffer
    .group_segment_fixed_size: 16224
    .kernarg_segment_align: 8
    .kernarg_segment_size: 104
    .language:       OpenCL C
    .language_version:
      - 2
      - 0
    .max_flat_workgroup_size: 156
    .name:           bluestein_single_fwd_len2028_dim1_sp_op_CI_CI
    .private_segment_fixed_size: 0
    .sgpr_count:     60
    .sgpr_spill_count: 0
    .symbol:         bluestein_single_fwd_len2028_dim1_sp_op_CI_CI.kd
    .uniform_work_group_size: 1
    .uses_dynamic_stack: false
    .vgpr_count:     283
    .vgpr_spill_count: 0
    .wavefront_size: 64
amdhsa.target:   amdgcn-amd-amdhsa--gfx950
amdhsa.version:
  - 1
  - 2
...

	.end_amdgpu_metadata
